;; amdgpu-corpus repo=ROCm/rocFFT kind=compiled arch=gfx1201 opt=O3
	.text
	.amdgcn_target "amdgcn-amd-amdhsa--gfx1201"
	.amdhsa_code_object_version 6
	.protected	bluestein_single_back_len924_dim1_sp_op_CI_CI ; -- Begin function bluestein_single_back_len924_dim1_sp_op_CI_CI
	.globl	bluestein_single_back_len924_dim1_sp_op_CI_CI
	.p2align	8
	.type	bluestein_single_back_len924_dim1_sp_op_CI_CI,@function
bluestein_single_back_len924_dim1_sp_op_CI_CI: ; @bluestein_single_back_len924_dim1_sp_op_CI_CI
; %bb.0:
	s_load_b128 s[8:11], s[0:1], 0x28
	v_mul_u32_u24_e32 v1, 0x5d2, v0
	s_mov_b32 s2, exec_lo
	v_mov_b32_e32 v139, 0
	s_delay_alu instid0(VALU_DEP_2) | instskip(NEXT) | instid1(VALU_DEP_1)
	v_lshrrev_b32_e32 v1, 16, v1
	v_add_nc_u32_e32 v138, ttmp9, v1
	s_wait_kmcnt 0x0
	s_delay_alu instid0(VALU_DEP_1)
	v_cmpx_gt_u64_e64 s[8:9], v[138:139]
	s_cbranch_execz .LBB0_31
; %bb.1:
	s_clause 0x1
	s_load_b128 s[4:7], s[0:1], 0x18
	s_load_b64 s[16:17], s[0:1], 0x0
	v_mul_lo_u16 v1, v1, 44
	s_movk_i32 s2, 0xfe5e
	s_mov_b32 s3, -1
	s_delay_alu instid0(VALU_DEP_1) | instskip(NEXT) | instid1(VALU_DEP_1)
	v_sub_nc_u16 v50, v0, v1
	v_and_b32_e32 v174, 0xffff, v50
	s_wait_kmcnt 0x0
	s_load_b128 s[12:15], s[4:5], 0x0
	s_wait_kmcnt 0x0
	v_mad_co_u64_u32 v[0:1], null, s14, v138, 0
	v_mad_co_u64_u32 v[2:3], null, s12, v174, 0
	s_mul_u64 s[4:5], s[12:13], 0x1ce
	s_mul_u64 s[2:3], s[12:13], s[2:3]
	s_delay_alu instid0(SALU_CYCLE_1) | instskip(NEXT) | instid1(VALU_DEP_1)
	s_lshl_b64 s[2:3], s[2:3], 3
	v_mad_co_u64_u32 v[4:5], null, s15, v138, v[1:2]
	s_delay_alu instid0(VALU_DEP_1) | instskip(NEXT) | instid1(VALU_DEP_3)
	v_mov_b32_e32 v1, v4
	v_mad_co_u64_u32 v[5:6], null, s13, v174, v[3:4]
	v_lshlrev_b32_e32 v173, 3, v174
	s_clause 0x1
	global_load_b64 v[155:156], v173, s[16:17] offset:3696
	global_load_b64 v[157:158], v173, s[16:17] offset:4048
	v_mov_b32_e32 v3, v5
	v_lshlrev_b64_e32 v[0:1], 3, v[0:1]
	s_clause 0xc
	global_load_b64 v[163:164], v173, s[16:17]
	global_load_b64 v[161:162], v173, s[16:17] offset:352
	global_load_b64 v[165:166], v173, s[16:17] offset:704
	;; [unrolled: 1-line block ×12, first 2 shown]
	v_lshlrev_b64_e32 v[2:3], 3, v[2:3]
	s_clause 0x2
	global_load_b64 v[139:140], v173, s[16:17] offset:5808
	global_load_b64 v[134:135], v173, s[16:17] offset:6160
	;; [unrolled: 1-line block ×3, first 2 shown]
	v_add_co_u32 v0, vcc_lo, s10, v0
	v_add_co_ci_u32_e32 v1, vcc_lo, s11, v1, vcc_lo
	s_lshl_b64 s[10:11], s[4:5], 3
	s_delay_alu instid0(VALU_DEP_2) | instskip(SKIP_1) | instid1(VALU_DEP_2)
	v_add_co_u32 v0, vcc_lo, v0, v2
	s_wait_alu 0xfffd
	v_add_co_ci_u32_e32 v1, vcc_lo, v1, v3, vcc_lo
	s_wait_alu 0xfffe
	s_delay_alu instid0(VALU_DEP_2)
	v_add_co_u32 v2, vcc_lo, v0, s10
	global_load_b64 v[8:9], v[0:1], off
	s_wait_alu 0xfffd
	v_add_co_ci_u32_e32 v3, vcc_lo, s11, v1, vcc_lo
	v_add_co_u32 v4, vcc_lo, v2, s2
	s_wait_alu 0xfffd
	s_delay_alu instid0(VALU_DEP_2) | instskip(NEXT) | instid1(VALU_DEP_2)
	v_add_co_ci_u32_e32 v5, vcc_lo, s3, v3, vcc_lo
	v_add_co_u32 v6, vcc_lo, v4, s10
	s_wait_alu 0xfffd
	s_delay_alu instid0(VALU_DEP_2) | instskip(NEXT) | instid1(VALU_DEP_2)
	v_add_co_ci_u32_e32 v7, vcc_lo, s11, v5, vcc_lo
	v_add_co_u32 v0, vcc_lo, v6, s2
	s_wait_alu 0xfffd
	s_delay_alu instid0(VALU_DEP_2)
	v_add_co_ci_u32_e32 v1, vcc_lo, s3, v7, vcc_lo
	s_clause 0x2
	global_load_b64 v[10:11], v[2:3], off
	global_load_b64 v[4:5], v[4:5], off
	global_load_b64 v[6:7], v[6:7], off
	v_add_co_u32 v2, vcc_lo, v0, s10
	s_wait_alu 0xfffd
	v_add_co_ci_u32_e32 v3, vcc_lo, s11, v1, vcc_lo
	global_load_b64 v[12:13], v[0:1], off
	v_add_co_u32 v0, vcc_lo, v2, s2
	s_wait_alu 0xfffd
	v_add_co_ci_u32_e32 v1, vcc_lo, s3, v3, vcc_lo
	global_load_b64 v[16:17], v[2:3], off
	;; [unrolled: 4-line block ×13, first 2 shown]
	v_add_co_u32 v14, vcc_lo, v2, s2
	global_load_b64 v[40:41], v[2:3], off
	s_wait_alu 0xfffd
	v_add_co_ci_u32_e32 v15, vcc_lo, s3, v3, vcc_lo
	v_add_co_u32 v0, vcc_lo, v14, s10
	s_wait_alu 0xfffd
	s_delay_alu instid0(VALU_DEP_2)
	v_add_co_ci_u32_e32 v1, vcc_lo, s11, v15, vcc_lo
	v_cmp_gt_u16_e32 vcc_lo, 22, v50
	s_wait_loadcnt 0x11
	v_mul_f32_e32 v46, v9, v164
	global_load_b64 v[145:146], v173, s[16:17] offset:3168
	global_load_b64 v[42:43], v[14:15], off
	global_load_b64 v[147:148], v173, s[16:17] offset:6864
	global_load_b64 v[44:45], v[0:1], off
	v_add_nc_u32_e32 v14, 0xc00, v173
	v_add_nc_u32_e32 v3, 0x1000, v173
	v_dual_mul_f32 v15, v8, v164 :: v_dual_add_nc_u32 v2, 0x800, v173
	v_fmac_f32_e32 v46, v8, v163
	s_load_b64 s[8:9], s[0:1], 0x38
	s_load_b128 s[4:7], s[6:7], 0x0
	v_add_co_u32 v124, s12, s16, v173
	v_fma_f32 v47, v9, v163, -v15
	s_wait_alu 0xf1ff
	v_add_co_ci_u32_e64 v125, null, s17, 0, s12
	s_wait_loadcnt 0x14
	v_dual_mul_f32 v8, v11, v156 :: v_dual_add_nc_u32 v15, 0x1800, v173
	s_wait_loadcnt 0x13
	v_mul_f32_e32 v51, v4, v162
	v_dual_mul_f32 v49, v10, v156 :: v_dual_mul_f32 v48, v5, v162
	s_delay_alu instid0(VALU_DEP_3) | instskip(NEXT) | instid1(VALU_DEP_2)
	v_fmac_f32_e32 v8, v10, v155
	v_fma_f32 v9, v11, v155, -v49
	s_delay_alu instid0(VALU_DEP_3)
	v_fmac_f32_e32 v48, v4, v161
	s_wait_loadcnt 0x12
	v_mul_f32_e32 v4, v7, v158
	v_fma_f32 v49, v5, v161, -v51
	v_mul_f32_e32 v5, v6, v158
	ds_store_b64 v173, v[8:9] offset:3696
	s_wait_loadcnt 0x10
	v_mul_f32_e32 v9, v16, v154
	v_mul_f32_e32 v10, v12, v166
	;; [unrolled: 1-line block ×3, first 2 shown]
	v_fma_f32 v5, v7, v157, -v5
	s_wait_loadcnt 0xf
	v_mul_f32_e32 v11, v18, v152
	v_fmac_f32_e32 v4, v6, v157
	v_mul_f32_e32 v6, v17, v154
	v_fma_f32 v7, v17, v153, -v9
	v_fma_f32 v9, v13, v165, -v10
	v_mul_f32_e32 v10, v19, v152
	ds_store_2addr_b64 v173, v[46:47], v[48:49] offset1:44
	v_fmac_f32_e32 v6, v16, v153
	v_fma_f32 v11, v19, v151, -v11
	ds_store_2addr_b64 v14, v[4:5], v[6:7] offset0:122 offset1:166
	s_wait_loadcnt 0xe
	v_mul_f32_e32 v5, v20, v150
	s_wait_loadcnt 0xc
	v_dual_mul_f32 v4, v21, v150 :: v_dual_mul_f32 v13, v24, v137
	v_fmac_f32_e32 v8, v12, v165
	v_mul_f32_e32 v12, v25, v137
	v_fmac_f32_e32 v10, v18, v151
	v_mul_f32_e32 v6, v23, v160
	v_mul_f32_e32 v7, v22, v160
	s_wait_loadcnt 0xb
	v_mul_f32_e32 v16, v27, v144
	v_mul_f32_e32 v14, v26, v144
	v_fmac_f32_e32 v4, v20, v149
	v_fma_f32 v5, v21, v149, -v5
	v_fmac_f32_e32 v12, v24, v136
	v_fma_f32 v13, v25, v136, -v13
	;; [unrolled: 2-line block ×3, first 2 shown]
	v_fma_f32 v17, v27, v143, -v14
	ds_store_2addr_b64 v173, v[8:9], v[10:11] offset0:88 offset1:132
	ds_store_2addr_b64 v3, v[4:5], v[12:13] offset0:82 offset1:126
	s_wait_loadcnt 0xa
	v_mul_f32_e32 v18, v29, v142
	v_mul_f32_e32 v5, v28, v142
	s_wait_loadcnt 0x8
	v_dual_mul_f32 v9, v30, v127 :: v_dual_mul_f32 v4, v33, v140
	s_delay_alu instid0(VALU_DEP_3) | instskip(NEXT) | instid1(VALU_DEP_3)
	v_fmac_f32_e32 v18, v28, v141
	v_fma_f32 v19, v29, v141, -v5
	s_delay_alu instid0(VALU_DEP_3) | instskip(SKIP_3) | instid1(VALU_DEP_1)
	v_fmac_f32_e32 v4, v32, v139
	s_wait_loadcnt 0x7
	v_mul_f32_e32 v10, v34, v131
	v_mul_f32_e32 v8, v35, v131
	v_fmac_f32_e32 v8, v34, v130
	s_wait_loadcnt 0x5
	v_mul_f32_e32 v11, v38, v133
	s_wait_loadcnt 0x4
	v_dual_fmac_f32 v16, v26, v143 :: v_dual_mul_f32 v13, v40, v129
	v_mul_f32_e32 v12, v41, v129
	s_delay_alu instid0(VALU_DEP_3) | instskip(SKIP_4) | instid1(VALU_DEP_3)
	v_fma_f32 v11, v39, v132, -v11
	ds_store_2addr_b64 v173, v[6:7], v[16:17] offset0:176 offset1:220
	v_dual_mul_f32 v7, v32, v140 :: v_dual_mul_f32 v6, v31, v127
	v_fmac_f32_e32 v12, v40, v128
	v_fma_f32 v13, v41, v128, -v13
	v_fma_f32 v5, v33, v139, -v7
	;; [unrolled: 1-line block ×4, first 2 shown]
	v_mul_f32_e32 v10, v39, v133
	v_fmac_f32_e32 v6, v30, v126
	ds_store_2addr_b64 v3, v[18:19], v[4:5] offset0:170 offset1:214
	v_mul_f32_e32 v4, v37, v135
	v_dual_mul_f32 v5, v36, v135 :: v_dual_fmac_f32 v10, v38, v132
	s_delay_alu instid0(VALU_DEP_2) | instskip(NEXT) | instid1(VALU_DEP_2)
	v_fmac_f32_e32 v4, v36, v134
	v_fma_f32 v5, v37, v134, -v5
	s_wait_loadcnt 0x2
	v_mul_f32_e32 v16, v43, v146
	v_mul_f32_e32 v14, v42, v146
	s_wait_loadcnt 0x0
	v_mul_f32_e32 v18, v45, v148
	s_delay_alu instid0(VALU_DEP_3) | instskip(NEXT) | instid1(VALU_DEP_3)
	v_dual_mul_f32 v19, v44, v148 :: v_dual_fmac_f32 v16, v42, v145
	v_fma_f32 v17, v43, v145, -v14
	s_delay_alu instid0(VALU_DEP_3) | instskip(NEXT) | instid1(VALU_DEP_3)
	v_fmac_f32_e32 v18, v44, v147
	v_fma_f32 v19, v45, v147, -v19
	ds_store_2addr_b64 v2, v[6:7], v[8:9] offset0:8 offset1:52
	ds_store_2addr_b64 v15, v[4:5], v[12:13] offset0:2 offset1:46
	;; [unrolled: 1-line block ×3, first 2 shown]
	ds_store_b64 v173, v[18:19] offset:6864
	s_and_saveexec_b32 s12, vcc_lo
	s_cbranch_execz .LBB0_3
; %bb.2:
	v_add_co_u32 v0, s2, v0, s2
	s_wait_alu 0xf1ff
	v_add_co_ci_u32_e64 v1, s2, s3, v1, s2
	s_delay_alu instid0(VALU_DEP_2) | instskip(SKIP_1) | instid1(VALU_DEP_2)
	v_add_co_u32 v4, s2, v0, s10
	s_wait_alu 0xf1ff
	v_add_co_ci_u32_e64 v5, s2, s11, v1, s2
	global_load_b64 v[0:1], v[0:1], off
	s_clause 0x1
	global_load_b64 v[6:7], v[124:125], off offset:3520
	global_load_b64 v[8:9], v[124:125], off offset:7216
	global_load_b64 v[4:5], v[4:5], off
	s_wait_loadcnt 0x2
	v_mul_f32_e32 v10, v1, v7
	v_mul_f32_e32 v11, v0, v7
	s_wait_loadcnt 0x0
	v_mul_f32_e32 v7, v5, v9
	v_mul_f32_e32 v9, v4, v9
	v_fmac_f32_e32 v10, v0, v6
	v_fma_f32 v11, v1, v6, -v11
	s_delay_alu instid0(VALU_DEP_4) | instskip(NEXT) | instid1(VALU_DEP_4)
	v_fmac_f32_e32 v7, v4, v8
	v_fma_f32 v8, v5, v8, -v9
	ds_store_b64 v173, v[10:11] offset:3520
	ds_store_b64 v173, v[7:8] offset:7216
.LBB0_3:
	s_wait_alu 0xfffe
	s_or_b32 exec_lo, exec_lo, s12
	v_add_nc_u32_e32 v0, 0x1400, v173
	global_wb scope:SCOPE_SE
	s_wait_dscnt 0x0
	s_wait_kmcnt 0x0
	s_barrier_signal -1
	s_barrier_wait -1
	global_inv scope:SCOPE_SE
	ds_load_2addr_b64 v[19:22], v173 offset1:44
	ds_load_2addr_b64 v[31:34], v2 offset0:206 offset1:250
	ds_load_2addr_b64 v[7:10], v173 offset0:88 offset1:132
	;; [unrolled: 1-line block ×9, first 2 shown]
                                        ; implicit-def: $vgpr43
                                        ; implicit-def: $vgpr0
	s_and_saveexec_b32 s2, vcc_lo
	s_cbranch_execz .LBB0_5
; %bb.4:
	ds_load_b64 v[0:1], v173 offset:3520
	ds_load_b64 v[43:44], v173 offset:7216
.LBB0_5:
	s_wait_alu 0xfffe
	s_or_b32 exec_lo, exec_lo, s2
	s_load_b64 s[2:3], s[0:1], 0x8
	s_wait_dscnt 0x8
	v_dual_sub_f32 v33, v21, v33 :: v_dual_lshlrev_b32 v50, 1, v174
	s_wait_dscnt 0x6
	v_dual_sub_f32 v34, v22, v34 :: v_dual_sub_f32 v59, v8, v40
	v_add_co_u32 v78, s0, v174, 44
	s_wait_alu 0xf1ff
	v_add_co_ci_u32_e64 v2, null, 0, 0, s0
	v_add_co_u32 v45, s0, 0x58, v174
	v_dual_sub_f32 v54, v19, v31 :: v_dual_sub_f32 v55, v20, v32
	v_sub_f32_e32 v58, v7, v39
	v_fma_f32 v31, v21, 2.0, -v33
	v_sub_f32_e32 v21, v9, v41
	v_fma_f32 v32, v22, 2.0, -v34
	s_wait_dscnt 0x4
	v_dual_sub_f32 v22, v10, v42 :: v_dual_sub_f32 v39, v27, v35
	v_sub_f32_e32 v40, v28, v36
	s_wait_dscnt 0x0
	v_dual_sub_f32 v62, v13, v25 :: v_dual_sub_f32 v15, v3, v15
	s_wait_alu 0xf1ff
	v_add_co_ci_u32_e64 v2, null, 0, 0, s0
	v_add_co_u32 v49, null, 0x84, v174
	v_add_co_u32 v48, null, 0xb0, v174
	;; [unrolled: 1-line block ×5, first 2 shown]
	v_fma_f32 v52, v19, 2.0, -v54
	v_fma_f32 v53, v20, 2.0, -v55
	;; [unrolled: 1-line block ×5, first 2 shown]
	v_sub_f32_e32 v9, v29, v37
	v_fma_f32 v20, v10, 2.0, -v22
	v_sub_f32_e32 v10, v30, v38
	v_fma_f32 v37, v27, 2.0, -v39
	;; [unrolled: 2-line block ×3, first 2 shown]
	v_dual_sub_f32 v28, v12, v24 :: v_dual_sub_f32 v63, v14, v26
	v_fma_f32 v60, v13, 2.0, -v62
	v_fma_f32 v13, v3, 2.0, -v15
	v_dual_sub_f32 v66, v5, v17 :: v_dual_lshlrev_b32 v123, 4, v174
	v_dual_sub_f32 v2, v0, v43 :: v_dual_sub_f32 v3, v1, v44
	v_lshlrev_b32_e32 v176, 4, v78
	v_dual_sub_f32 v16, v4, v16 :: v_dual_lshlrev_b32 v177, 4, v45
	v_sub_f32_e32 v67, v6, v18
	v_fma_f32 v7, v29, 2.0, -v9
	v_fma_f32 v8, v30, 2.0, -v10
	;; [unrolled: 1-line block ×6, first 2 shown]
	global_wb scope:SCOPE_SE
	s_wait_kmcnt 0x0
	s_barrier_signal -1
	s_barrier_wait -1
	global_inv scope:SCOPE_SE
	ds_store_b128 v123, v[52:55]
	v_lshlrev_b32_e32 v44, 1, v78
	ds_store_b128 v176, v[31:34]
	v_lshlrev_b32_e32 v52, 1, v45
	v_lshlrev_b32_e32 v178, 4, v49
	ds_store_b128 v177, v[56:59]
	v_lshlrev_b32_e32 v179, 4, v48
	v_lshlrev_b32_e32 v53, 1, v49
	;; [unrolled: 1-line block ×7, first 2 shown]
	v_add_nc_u32_e32 v194, 0x268, v50
	v_add_nc_u32_e32 v195, 0x2c0, v50
	;; [unrolled: 1-line block ×3, first 2 shown]
	v_lshlrev_b32_e32 v182, 4, v51
	v_fma_f32 v61, v14, 2.0, -v63
	v_fma_f32 v14, v4, 2.0, -v16
	v_lshlrev_b32_e32 v4, 3, v50
	v_fma_f32 v64, v5, 2.0, -v66
	v_fma_f32 v65, v6, 2.0, -v67
	ds_store_b128 v178, v[19:22]
	ds_store_b128 v179, v[37:40]
	;; [unrolled: 1-line block ×4, first 2 shown]
	ds_store_b128 v4, v[60:63] offset:4928
	ds_store_b128 v4, v[13:16] offset:5632
	;; [unrolled: 1-line block ×3, first 2 shown]
	s_and_saveexec_b32 s0, vcc_lo
	s_cbranch_execz .LBB0_7
; %bb.6:
	ds_store_b128 v182, v[0:3]
.LBB0_7:
	s_wait_alu 0xfffe
	s_or_b32 exec_lo, exec_lo, s0
	v_add_nc_u32_e32 v17, 0x1000, v173
	v_add_nc_u32_e32 v16, 0x800, v173
	;; [unrolled: 1-line block ×4, first 2 shown]
	global_wb scope:SCOPE_SE
	s_wait_dscnt 0x0
	s_barrier_signal -1
	s_barrier_wait -1
	global_inv scope:SCOPE_SE
	ds_load_2addr_b64 v[8:11], v173 offset1:44
	ds_load_2addr_b64 v[28:31], v16 offset0:206 offset1:250
	ds_load_2addr_b64 v[4:7], v173 offset0:88 offset1:132
	;; [unrolled: 1-line block ×9, first 2 shown]
	s_and_saveexec_b32 s0, vcc_lo
	s_cbranch_execz .LBB0_9
; %bb.8:
	ds_load_b64 v[0:1], v173 offset:3520
	ds_load_b64 v[2:3], v173 offset:7216
.LBB0_9:
	s_wait_alu 0xfffe
	s_or_b32 exec_lo, exec_lo, s0
	v_and_b32_e32 v175, 1, v174
	s_delay_alu instid0(VALU_DEP_1)
	v_lshlrev_b32_e32 v57, 3, v175
	v_and_or_b32 v44, 0xfc, v44, v175
	global_load_b64 v[167:168], v57, s[2:3]
	v_lshlrev_b32_e32 v180, 1, v51
	v_lshlrev_b32_e32 v192, 3, v44
	global_wb scope:SCOPE_SE
	s_wait_loadcnt_dscnt 0x0
	s_barrier_signal -1
	s_barrier_wait -1
	global_inv scope:SCOPE_SE
	v_mul_f32_e32 v44, v29, v168
	v_and_or_b32 v51, 0x1fc, v52, v175
	v_and_or_b32 v52, 0x1fc, v53, v175
	;; [unrolled: 1-line block ×5, first 2 shown]
	v_dual_mul_f32 v70, v2, v168 :: v_dual_lshlrev_b32 v191, 3, v51
	v_and_or_b32 v55, 0x2fc, v56, v175
	s_delay_alu instid0(VALU_DEP_4) | instskip(SKIP_4) | instid1(VALU_DEP_4)
	v_lshlrev_b32_e32 v188, 3, v54
	v_mul_f32_e32 v54, v24, v168
	v_and_or_b32 v58, 0x3fc, v196, v175
	v_and_or_b32 v57, 0x3fc, v195, v175
	v_lshlrev_b32_e32 v193, 3, v50
	v_dual_mul_f32 v63, v39, v168 :: v_dual_fmac_f32 v54, v25, v167
	v_lshlrev_b32_e32 v190, 3, v52
	v_mul_f32_e32 v52, v30, v168
	v_fmac_f32_e32 v70, v3, v167
	v_mul_f32_e32 v66, v32, v168
	v_and_or_b32 v56, 0x2fc, v194, v175
	v_lshlrev_b32_e32 v187, 3, v55
	v_dual_mul_f32 v55, v27, v168 :: v_dual_lshlrev_b32 v184, 3, v58
	v_dual_mul_f32 v58, v40, v168 :: v_dual_lshlrev_b32 v185, 3, v57
	v_mul_f32_e32 v60, v42, v168
	v_mul_f32_e32 v50, v28, v168
	v_dual_mul_f32 v57, v41, v168 :: v_dual_fmac_f32 v52, v31, v167
	v_dual_mul_f32 v64, v38, v168 :: v_dual_sub_f32 v97, v1, v70
	v_dual_fmac_f32 v66, v33, v167 :: v_dual_mul_f32 v51, v31, v168
	v_lshlrev_b32_e32 v189, 3, v53
	v_mul_f32_e32 v53, v25, v168
	v_dual_mul_f32 v67, v35, v168 :: v_dual_fmac_f32 v58, v41, v167
	v_lshlrev_b32_e32 v186, 3, v56
	v_mul_f32_e32 v56, v26, v168
	v_dual_mul_f32 v59, v43, v168 :: v_dual_fmac_f32 v50, v29, v167
	v_mul_f32_e32 v61, v37, v168
	v_dual_mul_f32 v65, v33, v168 :: v_dual_fmac_f32 v60, v43, v167
	v_mul_f32_e32 v68, v34, v168
	v_fma_f32 v28, v28, v167, -v44
	v_fmac_f32_e32 v64, v39, v167
	v_sub_f32_e32 v25, v11, v52
	v_dual_mul_f32 v62, v36, v168 :: v_dual_sub_f32 v39, v17, v66
	v_mul_f32_e32 v69, v3, v168
	v_fma_f32 v29, v30, v167, -v51
	v_fma_f32 v30, v24, v167, -v53
	s_delay_alu instid0(VALU_DEP_4)
	v_fmac_f32_e32 v62, v37, v167
	v_fma_f32 v31, v26, v167, -v55
	v_fmac_f32_e32 v56, v27, v167
	v_fma_f32 v40, v40, v167, -v57
	v_fma_f32 v41, v42, v167, -v59
	;; [unrolled: 1-line block ×6, first 2 shown]
	v_fmac_f32_e32 v68, v35, v167
	v_fma_f32 v43, v2, v167, -v69
	v_dual_sub_f32 v2, v8, v28 :: v_dual_sub_f32 v3, v9, v50
	v_dual_sub_f32 v24, v10, v29 :: v_dual_sub_f32 v29, v7, v56
	;; [unrolled: 1-line block ×8, first 2 shown]
	v_sub_f32_e32 v38, v16, v38
	v_sub_f32_e32 v40, v18, v42
	;; [unrolled: 1-line block ×3, first 2 shown]
	v_fma_f32 v8, v8, 2.0, -v2
	v_fma_f32 v9, v9, 2.0, -v3
	;; [unrolled: 1-line block ×20, first 2 shown]
	ds_store_2addr_b64 v193, v[8:9], v[2:3] offset1:2
	ds_store_2addr_b64 v192, v[10:11], v[24:25] offset1:2
	;; [unrolled: 1-line block ×10, first 2 shown]
	s_and_saveexec_b32 s0, vcc_lo
	s_cbranch_execz .LBB0_11
; %bb.10:
	v_and_or_b32 v2, 0x3fc, v180, v175
	v_fma_f32 v1, v1, 2.0, -v97
	v_fma_f32 v0, v0, 2.0, -v96
	s_delay_alu instid0(VALU_DEP_3)
	v_lshlrev_b32_e32 v2, 3, v2
	ds_store_2addr_b64 v2, v[0:1], v[96:97] offset1:2
.LBB0_11:
	s_wait_alu 0xfffe
	s_or_b32 exec_lo, exec_lo, s0
	v_and_b32_e32 v41, 3, v174
	global_wb scope:SCOPE_SE
	s_wait_dscnt 0x0
	s_barrier_signal -1
	s_barrier_wait -1
	global_inv scope:SCOPE_SE
	v_lshlrev_b32_e32 v0, 4, v41
	ds_load_2addr_b64 v[12:15], v173 offset1:44
	v_lshrrev_b32_e32 v52, 2, v49
	v_lshrrev_b32_e32 v53, 2, v48
	;; [unrolled: 1-line block ×3, first 2 shown]
	global_load_b128 v[0:3], v0, s[2:3] offset:16
	v_add_nc_u32_e32 v101, 0x800, v173
	v_add_nc_u32_e32 v100, 0x1000, v173
	ds_load_2addr_b64 v[8:11], v173 offset0:88 offset1:132
	ds_load_2addr_b64 v[4:7], v173 offset0:176 offset1:220
	v_add_nc_u32_e32 v40, 0x1800, v173
	ds_load_b64 v[50:51], v173 offset:7040
	v_lshrrev_b32_e32 v55, 2, v46
	ds_load_2addr_b64 v[16:19], v101 offset0:8 offset1:52
	ds_load_2addr_b64 v[20:23], v100 offset0:104 offset1:148
	;; [unrolled: 1-line block ×7, first 2 shown]
	v_lshrrev_b32_e32 v42, 2, v174
	v_lshrrev_b32_e32 v44, 2, v45
	v_and_b32_e32 v56, 0xff, v174
	v_mul_u32_u24_e32 v55, 12, v55
	v_and_b32_e32 v57, 0xff, v78
	v_lshrrev_b32_e32 v43, 2, v78
	v_mul_u32_u24_e32 v42, 12, v42
	v_mul_u32_u24_e32 v44, 12, v44
	v_or_b32_e32 v55, v55, v41
	v_and_b32_e32 v58, 0xff, v45
	v_mul_u32_u24_e32 v43, 12, v43
	v_mul_u32_u24_e32 v52, 12, v52
	v_or_b32_e32 v42, v42, v41
	v_lshlrev_b32_e32 v197, 3, v55
	v_or_b32_e32 v59, v44, v41
	v_mul_u32_u24_e32 v53, 12, v53
	v_mul_u32_u24_e32 v54, 12, v54
	v_or_b32_e32 v43, v43, v41
	v_or_b32_e32 v52, v52, v41
	v_lshlrev_b32_e32 v203, 3, v42
	v_or_b32_e32 v53, v53, v41
	v_or_b32_e32 v54, v54, v41
	v_lshlrev_b32_e32 v202, 3, v43
	v_lshlrev_b32_e32 v200, 3, v52
	;; [unrolled: 1-line block ×5, first 2 shown]
	global_wb scope:SCOPE_SE
	s_wait_loadcnt_dscnt 0x0
	s_barrier_signal -1
	s_barrier_wait -1
	global_inv scope:SCOPE_SE
	v_cmp_gt_u16_e64 s0, 40, v174
	v_mul_f32_e32 v65, v26, v1
	v_mul_f32_e32 v55, v19, v1
	v_mul_lo_u16 v56, 0xab, v56
	v_mul_f32_e32 v60, v25, v1
	v_mul_lo_u16 v57, 0xab, v57
	;; [unrolled: 2-line block ×3, first 2 shown]
	v_lshrrev_b16 v56, 11, v56
	v_mul_f32_e32 v59, v20, v3
	v_lshrrev_b16 v44, 11, v57
	v_mul_f32_e32 v61, v24, v1
	v_lshrrev_b16 v41, 11, v58
	v_mul_lo_u16 v57, v56, 12
	v_mul_f32_e32 v58, v21, v3
	v_mul_lo_u16 v42, v44, 12
	v_mul_f32_e32 v62, v23, v3
	v_mul_f32_e32 v63, v22, v3
	v_sub_nc_u16 v43, v174, v57
	v_mul_f32_e32 v57, v18, v1
	v_sub_nc_u16 v52, v78, v42
	v_dual_mul_f32 v64, v27, v1 :: v_dual_mul_f32 v67, v28, v3
	s_delay_alu instid0(VALU_DEP_4) | instskip(NEXT) | instid1(VALU_DEP_3)
	v_dual_mul_f32 v69, v32, v1 :: v_dual_and_b32 v42, 0xff, v43
	v_dual_mul_f32 v70, v31, v3 :: v_dual_and_b32 v43, 0xff, v52
	v_dual_mul_f32 v68, v33, v1 :: v_dual_mul_f32 v79, v39, v3
	v_mul_f32_e32 v82, v48, v1
	v_dual_mul_f32 v84, v50, v3 :: v_dual_fmac_f32 v57, v19, v0
	v_fma_f32 v19, v20, v2, -v58
	v_fma_f32 v20, v24, v0, -v60
	v_mul_f32_e32 v66, v29, v3
	v_dual_mul_f32 v75, v36, v3 :: v_dual_mul_f32 v76, v47, v1
	v_mul_f32_e32 v72, v35, v1
	v_dual_mul_f32 v73, v34, v1 :: v_dual_mul_f32 v74, v37, v3
	v_dual_mul_f32 v80, v38, v3 :: v_dual_mul_f32 v81, v49, v1
	v_mul_f32_e32 v77, v46, v1
	v_dual_mul_f32 v83, v51, v3 :: v_dual_fmac_f32 v82, v49, v0
	v_fma_f32 v18, v18, v0, -v55
	v_fmac_f32_e32 v59, v21, v2
	v_dual_fmac_f32 v61, v25, v0 :: v_dual_fmac_f32 v84, v51, v2
	v_fma_f32 v21, v22, v2, -v62
	v_fma_f32 v22, v26, v0, -v64
	v_fmac_f32_e32 v67, v29, v2
	v_fma_f32 v24, v32, v0, -v68
	v_fma_f32 v25, v30, v2, -v70
	;; [unrolled: 1-line block ×3, first 2 shown]
	v_dual_add_f32 v38, v14, v20 :: v_dual_fmac_f32 v63, v23, v2
	v_fma_f32 v23, v28, v2, -v66
	v_dual_fmac_f32 v65, v27, v0 :: v_dual_add_f32 v32, v12, v18
	v_fma_f32 v28, v46, v0, -v76
	v_fmac_f32_e32 v69, v33, v0
	v_fmac_f32_e32 v71, v31, v2
	v_fma_f32 v26, v34, v0, -v72
	v_fma_f32 v27, v36, v2, -v74
	v_add_f32_e32 v36, v57, v59
	v_dual_fmac_f32 v75, v37, v2 :: v_dual_add_f32 v62, v24, v25
	v_fmac_f32_e32 v80, v39, v2
	v_fma_f32 v30, v48, v0, -v81
	v_fma_f32 v31, v50, v2, -v83
	v_dual_add_f32 v33, v18, v19 :: v_dual_sub_f32 v68, v24, v25
	v_dual_sub_f32 v34, v57, v59 :: v_dual_fmac_f32 v73, v35, v0
	v_dual_sub_f32 v46, v61, v63 :: v_dual_fmac_f32 v77, v47, v0
	v_add_f32_e32 v48, v61, v63
	v_dual_add_f32 v50, v8, v22 :: v_dual_add_f32 v47, v15, v61
	v_dual_sub_f32 v64, v69, v71 :: v_dual_add_f32 v61, v10, v24
	v_sub_f32_e32 v72, v73, v75
	v_dual_add_f32 v51, v22, v23 :: v_dual_sub_f32 v86, v28, v29
	v_dual_sub_f32 v60, v22, v23 :: v_dual_add_f32 v39, v20, v21
	v_dual_add_f32 v58, v65, v67 :: v_dual_add_f32 v81, v28, v29
	v_dual_add_f32 v22, v50, v23 :: v_dual_add_f32 v35, v13, v57
	v_add_f32_e32 v70, v26, v27
	v_dual_sub_f32 v37, v18, v19 :: v_dual_add_f32 v74, v5, v73
	v_dual_sub_f32 v49, v20, v21 :: v_dual_add_f32 v66, v69, v71
	v_sub_f32_e32 v55, v65, v67
	v_dual_add_f32 v57, v9, v65 :: v_dual_sub_f32 v76, v26, v27
	v_dual_add_f32 v65, v11, v69 :: v_dual_add_f32 v88, v30, v31
	v_dual_add_f32 v69, v4, v26 :: v_dual_add_f32 v20, v38, v21
	;; [unrolled: 1-line block ×3, first 2 shown]
	v_add_f32_e32 v73, v73, v75
	v_dual_sub_f32 v83, v77, v80 :: v_dual_add_f32 v18, v32, v19
	s_delay_alu instid0(VALU_DEP_4)
	v_dual_add_f32 v85, v7, v77 :: v_dual_add_f32 v26, v69, v27
	v_dual_add_f32 v87, v16, v30 :: v_dual_add_f32 v24, v61, v25
	v_add_f32_e32 v77, v77, v80
	v_fma_f32 v12, -0.5, v33, v12
	v_sub_f32_e32 v89, v82, v84
	v_add_f32_e32 v82, v82, v84
	v_fma_f32 v13, -0.5, v36, v13
	v_fma_f32 v14, -0.5, v39, v14
	v_fma_f32 v8, -0.5, v51, v8
	v_fmac_f32_e32 v15, -0.5, v48
	v_fma_f32 v9, -0.5, v58, v9
	v_fma_f32 v6, -0.5, v81, v6
	v_mul_lo_u16 v54, v41, 12
	v_dual_fmamk_f32 v36, v55, 0x3f5db3d7, v8 :: v_dual_sub_f32 v91, v30, v31
	v_dual_add_f32 v19, v35, v59 :: v_dual_fmamk_f32 v32, v34, 0x3f5db3d7, v12
	v_fma_f32 v10, -0.5, v62, v10
	v_dual_fmac_f32 v11, -0.5, v66 :: v_dual_fmac_f32 v8, 0xbf5db3d7, v55
	v_fma_f32 v4, -0.5, v70, v4
	v_add_f32_e32 v28, v79, v29
	v_fma_f32 v5, -0.5, v73, v5
	v_dual_add_f32 v30, v87, v31 :: v_dual_fmac_f32 v7, -0.5, v77
	v_fma_f32 v16, -0.5, v88, v16
	v_fmac_f32_e32 v12, 0xbf5db3d7, v34
	v_fmac_f32_e32 v17, -0.5, v82
	v_fmamk_f32 v33, v37, 0xbf5db3d7, v13
	v_fmac_f32_e32 v13, 0x3f5db3d7, v37
	v_mad_co_u64_u32 v[52:53], null, v42, 48, s[2:3]
	v_dual_add_f32 v21, v47, v63 :: v_dual_fmamk_f32 v34, v46, 0x3f5db3d7, v14
	v_dual_fmamk_f32 v35, v49, 0xbf5db3d7, v15 :: v_dual_fmac_f32 v14, 0xbf5db3d7, v46
	v_fmac_f32_e32 v15, 0x3f5db3d7, v49
	v_dual_add_f32 v23, v57, v67 :: v_dual_fmamk_f32 v38, v64, 0x3f5db3d7, v10
	v_dual_add_f32 v29, v85, v80 :: v_dual_fmamk_f32 v48, v83, 0x3f5db3d7, v6
	v_dual_add_f32 v31, v90, v84 :: v_dual_fmac_f32 v6, 0xbf5db3d7, v83
	v_fmamk_f32 v37, v60, 0xbf5db3d7, v9
	v_dual_add_f32 v25, v65, v71 :: v_dual_fmac_f32 v10, 0xbf5db3d7, v64
	v_dual_add_f32 v27, v74, v75 :: v_dual_fmamk_f32 v46, v72, 0x3f5db3d7, v4
	v_fmac_f32_e32 v9, 0x3f5db3d7, v60
	v_fmamk_f32 v39, v68, 0xbf5db3d7, v11
	v_fmac_f32_e32 v11, 0x3f5db3d7, v68
	v_dual_fmac_f32 v4, 0xbf5db3d7, v72 :: v_dual_fmamk_f32 v47, v76, 0xbf5db3d7, v5
	v_fmac_f32_e32 v5, 0x3f5db3d7, v76
	v_fmamk_f32 v49, v86, 0xbf5db3d7, v7
	v_dual_fmac_f32 v7, 0x3f5db3d7, v86 :: v_dual_fmamk_f32 v50, v89, 0x3f5db3d7, v16
	v_dual_fmac_f32 v16, 0xbf5db3d7, v89 :: v_dual_fmamk_f32 v51, v91, 0xbf5db3d7, v17
	v_fmac_f32_e32 v17, 0x3f5db3d7, v91
	ds_store_2addr_b64 v203, v[18:19], v[32:33] offset1:4
	ds_store_b64 v203, v[12:13] offset:64
	ds_store_2addr_b64 v202, v[20:21], v[34:35] offset1:4
	ds_store_b64 v202, v[14:15] offset:64
	;; [unrolled: 2-line block ×7, first 2 shown]
	v_sub_nc_u16 v6, v45, v54
	global_wb scope:SCOPE_SE
	s_wait_dscnt 0x0
	s_barrier_signal -1
	s_barrier_wait -1
	global_inv scope:SCOPE_SE
	s_clause 0x1
	global_load_b128 v[36:39], v[52:53], off offset:80
	global_load_b128 v[32:35], v[52:53], off offset:96
	v_and_b32_e32 v64, 0xff, v6
	v_mad_co_u64_u32 v[4:5], null, v43, 48, s[2:3]
	global_load_b128 v[28:31], v[52:53], off offset:112
	v_and_b32_e32 v48, 0xffff, v44
	v_mad_co_u64_u32 v[6:7], null, v64, 48, s[2:3]
	s_clause 0x5
	global_load_b128 v[24:27], v[4:5], off offset:80
	global_load_b128 v[20:23], v[4:5], off offset:96
	;; [unrolled: 1-line block ×6, first 2 shown]
	v_mul_u32_u24_e32 v60, 0x54, v48
	v_and_b32_e32 v45, 0xffff, v56
	ds_load_2addr_b64 v[48:51], v101 offset0:8 offset1:52
	ds_load_2addr_b64 v[52:55], v101 offset0:96 offset1:140
	v_add_lshl_u32 v205, v60, v43, 3
	ds_load_2addr_b64 v[60:63], v100 offset0:104 offset1:148
	v_mul_u32_u24_e32 v56, 0x54, v45
	ds_load_2addr_b64 v[44:47], v173 offset0:88 offset1:132
	v_and_b32_e32 v41, 0xffff, v41
	v_add_lshl_u32 v206, v56, v42, 3
	ds_load_2addr_b64 v[56:59], v100 offset0:16 offset1:60
	v_add_nc_u32_e32 v102, 0xc00, v173
	s_wait_loadcnt_dscnt 0x801
	v_mul_f32_e32 v83, v47, v37
	s_wait_loadcnt_dscnt 0x700
	v_dual_mul_f32 v89, v57, v35 :: v_dual_mul_f32 v84, v46, v37
	v_mul_f32_e32 v85, v49, v39
	s_wait_loadcnt 0x6
	v_dual_mul_f32 v86, v48, v39 :: v_dual_mul_f32 v91, v63, v29
	v_mul_f32_e32 v88, v54, v33
	v_mul_f32_e32 v90, v56, v35
	;; [unrolled: 1-line block ×3, first 2 shown]
	s_delay_alu instid0(VALU_DEP_4)
	v_fmac_f32_e32 v86, v49, v38
	s_wait_loadcnt 0x4
	v_mul_f32_e32 v106, v59, v23
	v_dual_mul_f32 v99, v51, v27 :: v_dual_fmac_f32 v90, v57, v34
	s_wait_loadcnt 0x1
	v_mul_f32_e32 v118, v61, v11
	v_mul_u32_u24_e32 v41, 0x54, v41
	v_dual_mul_f32 v103, v50, v27 :: v_dual_fmac_f32 v88, v55, v32
	v_mul_f32_e32 v114, v53, v15
	v_fma_f32 v46, v46, v36, -v83
	s_delay_alu instid0(VALU_DEP_4)
	v_add_lshl_u32 v204, v41, v64, 3
	ds_load_2addr_b64 v[40:43], v40 offset0:24 offset1:68
	ds_load_2addr_b64 v[64:67], v173 offset1:44
	ds_load_2addr_b64 v[68:71], v173 offset0:176 offset1:220
	ds_load_2addr_b64 v[72:75], v101 offset0:184 offset1:228
	;; [unrolled: 1-line block ×3, first 2 shown]
	ds_load_b64 v[76:77], v173 offset:7040
	v_mul_f32_e32 v87, v55, v33
	v_fmac_f32_e32 v84, v47, v36
	v_fma_f32 v47, v48, v38, -v85
	v_fma_f32 v49, v56, v34, -v89
	v_fmac_f32_e32 v92, v63, v28
	v_fma_f32 v50, v50, v26, -v99
	v_fma_f32 v55, v58, v22, -v106
	;; [unrolled: 1-line block ×3, first 2 shown]
	global_wb scope:SCOPE_SE
	s_wait_loadcnt_dscnt 0x0
	s_barrier_signal -1
	s_barrier_wait -1
	global_inv scope:SCOPE_SE
	v_mul_f32_e32 v93, v41, v31
	v_dual_mul_f32 v94, v40, v31 :: v_dual_mul_f32 v95, v69, v25
	v_mul_f32_e32 v98, v68, v25
	v_dual_mul_f32 v104, v73, v21 :: v_dual_mul_f32 v107, v58, v23
	s_delay_alu instid0(VALU_DEP_3) | instskip(SKIP_1) | instid1(VALU_DEP_4)
	v_fmac_f32_e32 v94, v41, v30
	v_mul_f32_e32 v108, v80, v17
	v_dual_mul_f32 v109, v79, v17 :: v_dual_fmac_f32 v98, v69, v24
	v_dual_mul_f32 v111, v42, v19 :: v_dual_mul_f32 v112, v71, v13
	v_mul_f32_e32 v120, v82, v5
	v_mul_f32_e32 v122, v77, v7
	v_fma_f32 v48, v54, v32, -v87
	v_fma_f32 v54, v62, v28, -v91
	;; [unrolled: 1-line block ×3, first 2 shown]
	v_dual_mul_f32 v105, v72, v21 :: v_dual_mul_f32 v110, v43, v19
	s_delay_alu instid0(VALU_DEP_3)
	v_dual_mul_f32 v113, v70, v13 :: v_dual_add_f32 v62, v47, v54
	v_dual_mul_f32 v115, v52, v15 :: v_dual_mul_f32 v116, v75, v9
	v_mul_f32_e32 v117, v74, v9
	v_mul_f32_e32 v119, v60, v11
	;; [unrolled: 1-line block ×3, first 2 shown]
	v_fma_f32 v41, v68, v24, -v95
	v_dual_fmac_f32 v103, v51, v26 :: v_dual_add_f32 v68, v48, v49
	v_fma_f32 v51, v72, v20, -v104
	v_fma_f32 v56, v79, v16, -v108
	v_fmac_f32_e32 v107, v59, v22
	v_fmac_f32_e32 v109, v80, v16
	v_fma_f32 v52, v52, v14, -v114
	v_fma_f32 v58, v81, v4, -v120
	;; [unrolled: 1-line block ×3, first 2 shown]
	v_add_f32_e32 v60, v46, v40
	v_sub_f32_e32 v40, v46, v40
	v_sub_f32_e32 v46, v84, v94
	v_fmac_f32_e32 v111, v43, v18
	v_fma_f32 v43, v70, v12, -v112
	v_fma_f32 v42, v42, v18, -v110
	v_mul_f32_e32 v169, v76, v7
	v_fmac_f32_e32 v113, v71, v12
	v_fmac_f32_e32 v115, v53, v14
	v_fma_f32 v53, v74, v8, -v116
	v_dual_fmac_f32 v119, v61, v10 :: v_dual_add_f32 v76, v43, v59
	v_dual_sub_f32 v47, v47, v54 :: v_dual_sub_f32 v54, v86, v92
	v_sub_f32_e32 v48, v49, v48
	v_fmac_f32_e32 v117, v75, v8
	v_add_f32_e32 v72, v50, v56
	v_sub_f32_e32 v50, v50, v56
	v_dual_fmac_f32 v105, v73, v20 :: v_dual_add_f32 v74, v51, v55
	v_add_f32_e32 v73, v103, v109
	v_add_f32_e32 v79, v52, v58
	v_dual_sub_f32 v52, v52, v58 :: v_dual_add_f32 v83, v62, v60
	v_dual_sub_f32 v85, v62, v60 :: v_dual_sub_f32 v62, v68, v62
	v_dual_fmac_f32 v121, v82, v4 :: v_dual_add_f32 v82, v117, v119
	v_dual_sub_f32 v56, v103, v109 :: v_dual_add_f32 v61, v84, v94
	v_add_f32_e32 v70, v41, v42
	s_delay_alu instid0(VALU_DEP_3) | instskip(SKIP_3) | instid1(VALU_DEP_4)
	v_dual_sub_f32 v58, v115, v121 :: v_dual_sub_f32 v49, v90, v88
	v_add_f32_e32 v63, v86, v92
	v_add_f32_e32 v69, v88, v90
	v_dual_fmac_f32 v169, v77, v6 :: v_dual_add_f32 v80, v115, v121
	v_add_f32_e32 v88, v49, v54
	s_delay_alu instid0(VALU_DEP_4)
	v_dual_sub_f32 v86, v63, v61 :: v_dual_add_f32 v71, v98, v111
	v_sub_f32_e32 v90, v49, v54
	v_dual_sub_f32 v41, v41, v42 :: v_dual_sub_f32 v42, v98, v111
	v_add_f32_e32 v75, v105, v107
	v_dual_sub_f32 v51, v55, v51 :: v_dual_sub_f32 v60, v60, v68
	v_dual_sub_f32 v54, v54, v46 :: v_dual_sub_f32 v55, v107, v105
	v_dual_add_f32 v92, v73, v71 :: v_dual_add_f32 v91, v72, v70
	s_delay_alu instid0(VALU_DEP_3)
	v_mul_f32_e32 v60, 0x3f4a47b2, v60
	v_sub_f32_e32 v94, v73, v71
	v_dual_add_f32 v81, v53, v57 :: v_dual_add_f32 v104, v79, v76
	v_dual_sub_f32 v53, v57, v53 :: v_dual_sub_f32 v106, v79, v76
	v_dual_add_f32 v77, v113, v169 :: v_dual_add_f32 v98, v55, v56
	v_sub_f32_e32 v57, v119, v117
	s_delay_alu instid0(VALU_DEP_3)
	v_dual_add_f32 v87, v48, v47 :: v_dual_add_f32 v108, v53, v52
	v_dual_sub_f32 v89, v48, v47 :: v_dual_sub_f32 v110, v53, v52
	v_sub_f32_e32 v47, v47, v40
	v_sub_f32_e32 v93, v72, v70
	;; [unrolled: 1-line block ×3, first 2 shown]
	v_dual_sub_f32 v72, v74, v72 :: v_dual_add_f32 v95, v51, v50
	v_add_f32_e32 v74, v74, v91
	v_sub_f32_e32 v76, v76, v81
	v_dual_add_f32 v83, v68, v83 :: v_dual_mul_f32 v68, 0x3d64c772, v62
	v_sub_f32_e32 v73, v75, v73
	v_dual_add_f32 v84, v63, v61 :: v_dual_sub_f32 v63, v69, v63
	v_dual_sub_f32 v48, v40, v48 :: v_dual_sub_f32 v43, v43, v59
	v_sub_f32_e32 v59, v113, v169
	s_delay_alu instid0(VALU_DEP_3)
	v_dual_sub_f32 v49, v46, v49 :: v_dual_add_f32 v84, v69, v84
	v_dual_sub_f32 v71, v71, v75 :: v_dual_mul_f32 v112, 0x3f5ff5aa, v54
	v_dual_sub_f32 v103, v55, v56 :: v_dual_sub_f32 v56, v56, v42
	v_dual_add_f32 v105, v80, v77 :: v_dual_mul_f32 v76, 0x3f4a47b2, v76
	v_dual_sub_f32 v107, v80, v77 :: v_dual_sub_f32 v80, v82, v80
	v_add_f32_e32 v46, v88, v46
	v_dual_mul_f32 v88, 0xbf08b237, v89 :: v_dual_mul_f32 v89, 0xbf08b237, v90
	v_dual_mul_f32 v90, 0x3f5ff5aa, v47 :: v_dual_sub_f32 v99, v51, v50
	v_dual_sub_f32 v50, v50, v41 :: v_dual_add_f32 v109, v57, v58
	v_dual_add_f32 v75, v75, v92 :: v_dual_add_f32 v92, v98, v42
	v_mul_f32_e32 v98, 0x3d64c772, v73
	v_sub_f32_e32 v61, v61, v69
	v_dual_sub_f32 v51, v41, v51 :: v_dual_mul_f32 v70, 0x3f4a47b2, v70
	v_dual_sub_f32 v55, v42, v55 :: v_dual_mul_f32 v114, 0x3f5ff5aa, v56
	v_dual_sub_f32 v79, v81, v79 :: v_dual_fmamk_f32 v62, v62, 0x3d64c772, v60
	v_sub_f32_e32 v52, v52, v43
	v_mul_f32_e32 v71, 0x3f4a47b2, v71
	v_add_f32_e32 v87, v87, v40
	v_fma_f32 v54, 0x3f5ff5aa, v54, -v89
	v_add_f32_e32 v42, v66, v74
	v_dual_sub_f32 v111, v57, v58 :: v_dual_add_f32 v40, v64, v83
	v_dual_sub_f32 v57, v59, v57 :: v_dual_sub_f32 v58, v58, v59
	v_fma_f32 v66, 0x3f3bfb3b, v94, -v98
	v_mul_f32_e32 v103, 0xbf08b237, v103
	v_dual_add_f32 v81, v81, v104 :: v_dual_add_f32 v104, v108, v43
	v_add_f32_e32 v59, v109, v59
	v_mul_f32_e32 v109, 0xbf08b237, v110
	v_dual_sub_f32 v77, v77, v82 :: v_dual_add_f32 v82, v82, v105
	v_dual_sub_f32 v53, v43, v53 :: v_dual_mul_f32 v110, 0xbf08b237, v111
	v_add_f32_e32 v91, v95, v41
	v_mul_f32_e32 v95, 0x3d64c772, v72
	v_mul_f32_e32 v105, 0x3d64c772, v79
	;; [unrolled: 1-line block ×3, first 2 shown]
	v_fma_f32 v64, 0x3f3bfb3b, v85, -v68
	v_fma_f32 v60, 0xbf3bfb3b, v85, -v60
	v_fmac_f32_e32 v54, 0x3ee1c552, v46
	v_fmamk_f32 v85, v48, 0x3eae86e6, v88
	v_fma_f32 v88, 0x3f5ff5aa, v47, -v88
	v_fmamk_f32 v47, v72, 0x3d64c772, v70
	v_fmamk_f32 v72, v55, 0x3eae86e6, v103
	v_dual_mul_f32 v69, 0x3d64c772, v63 :: v_dual_add_f32 v68, v44, v81
	v_fmamk_f32 v44, v79, 0x3d64c772, v76
	v_fma_f32 v79, 0x3f5ff5aa, v52, -v109
	v_fmamk_f32 v52, v83, 0xbf955555, v40
	v_mul_f32_e32 v61, 0x3f4a47b2, v61
	v_add_f32_e32 v41, v65, v84
	v_fma_f32 v65, 0x3f3bfb3b, v86, -v69
	v_add_f32_e32 v69, v45, v82
	v_fma_f32 v98, 0x3f5ff5aa, v58, -v110
	v_fmamk_f32 v63, v63, 0x3d64c772, v61
	v_fma_f32 v61, 0xbf3bfb3b, v86, -v61
	v_fmamk_f32 v86, v49, 0x3eae86e6, v89
	v_fma_f32 v89, 0xbeae86e6, v48, -v90
	v_fma_f32 v90, 0xbeae86e6, v49, -v112
	;; [unrolled: 1-line block ×5, first 2 shown]
	v_dual_fmamk_f32 v76, v53, 0x3eae86e6, v109 :: v_dual_add_f32 v43, v67, v75
	v_fmac_f32_e32 v90, 0x3ee1c552, v46
	v_mul_f32_e32 v115, 0x3f5ff5aa, v58
	v_fmac_f32_e32 v86, 0x3ee1c552, v46
	v_fmamk_f32 v46, v74, 0xbf955555, v42
	v_mul_f32_e32 v99, 0xbf08b237, v99
	v_fmamk_f32 v58, v81, 0xbf955555, v68
	v_mul_f32_e32 v77, 0x3f4a47b2, v77
	v_mul_f32_e32 v108, 0x3d64c772, v80
	v_fmamk_f32 v48, v73, 0x3d64c772, v71
	v_fma_f32 v67, 0xbf3bfb3b, v93, -v70
	v_fma_f32 v93, 0x3f5ff5aa, v56, -v103
	v_dual_fmamk_f32 v45, v80, 0x3d64c772, v77 :: v_dual_add_f32 v80, v49, v46
	v_fma_f32 v73, 0x3f5ff5aa, v50, -v99
	v_fma_f32 v70, 0xbf3bfb3b, v94, -v71
	;; [unrolled: 1-line block ×3, first 2 shown]
	v_fmac_f32_e32 v88, 0x3ee1c552, v87
	s_delay_alu instid0(VALU_DEP_4)
	v_dual_fmac_f32 v72, 0x3ee1c552, v92 :: v_dual_fmac_f32 v73, 0x3ee1c552, v91
	v_fmamk_f32 v71, v51, 0x3eae86e6, v99
	v_fma_f32 v99, 0xbeae86e6, v53, -v111
	v_fmac_f32_e32 v93, 0x3ee1c552, v92
	v_fmamk_f32 v53, v84, 0xbf955555, v41
	v_dual_fmac_f32 v95, 0x3ee1c552, v92 :: v_dual_fmac_f32 v98, 0x3ee1c552, v59
	v_add_f32_e32 v84, v44, v58
	v_fma_f32 v56, 0xbf3bfb3b, v107, -v77
	v_add_f32_e32 v67, v67, v46
	v_fmamk_f32 v77, v57, 0x3eae86e6, v110
	v_fmamk_f32 v57, v75, 0xbf955555, v43
	v_mul_f32_e32 v113, 0x3f5ff5aa, v50
	v_fmamk_f32 v74, v82, 0xbf955555, v69
	v_dual_fmac_f32 v71, 0x3ee1c552, v91 :: v_dual_fmac_f32 v76, 0x3ee1c552, v104
	s_delay_alu instid0(VALU_DEP_4) | instskip(NEXT) | instid1(VALU_DEP_4)
	v_add_f32_e32 v70, v70, v57
	v_fma_f32 v94, 0xbeae86e6, v51, -v113
	v_fma_f32 v51, 0x3f3bfb3b, v107, -v108
	v_fmac_f32_e32 v79, 0x3ee1c552, v104
	v_fmac_f32_e32 v99, 0x3ee1c552, v104
	;; [unrolled: 1-line block ×4, first 2 shown]
	v_add_f32_e32 v104, v51, v74
	v_fma_f32 v50, 0x3f3bfb3b, v106, -v105
	v_add_f32_e32 v105, v55, v58
	v_fmac_f32_e32 v89, 0x3ee1c552, v87
	v_add_f32_e32 v75, v48, v57
	v_add_f32_e32 v66, v66, v57
	v_dual_add_f32 v91, v50, v58 :: v_dual_add_f32 v58, v95, v67
	v_fmac_f32_e32 v77, 0x3ee1c552, v59
	v_dual_add_f32 v59, v62, v52 :: v_dual_add_f32 v62, v63, v53
	v_add_f32_e32 v63, v64, v52
	v_add_f32_e32 v52, v60, v52
	v_sub_f32_e32 v60, v80, v93
	v_add_f32_e32 v80, v93, v80
	v_add_f32_e32 v64, v65, v53
	v_dual_sub_f32 v48, v63, v54 :: v_dual_fmac_f32 v85, 0x3ee1c552, v87
	v_dual_add_f32 v53, v61, v53 :: v_dual_add_f32 v50, v54, v63
	v_dual_add_f32 v65, v47, v46 :: v_dual_add_f32 v44, v86, v59
	v_sub_f32_e32 v54, v59, v86
	v_add_f32_e32 v87, v45, v74
	v_dual_add_f32 v74, v56, v74 :: v_dual_sub_f32 v45, v62, v85
	v_add_f32_e32 v46, v90, v52
	v_add_f32_e32 v49, v88, v64
	v_sub_f32_e32 v59, v70, v94
	v_add_f32_e32 v83, v94, v70
	v_dual_add_f32 v94, v98, v91 :: v_dual_sub_f32 v47, v53, v89
	v_sub_f32_e32 v51, v64, v88
	v_dual_sub_f32 v52, v52, v90 :: v_dual_add_f32 v53, v89, v53
	v_dual_add_f32 v55, v85, v62 :: v_dual_add_f32 v56, v72, v65
	v_sub_f32_e32 v57, v75, v71
	v_add_f32_e32 v61, v73, v66
	v_dual_sub_f32 v81, v66, v73 :: v_dual_sub_f32 v66, v65, v72
	v_add_f32_e32 v72, v103, v105
	v_add_f32_e32 v70, v77, v84
	v_sub_f32_e32 v88, v105, v103
	v_dual_sub_f32 v92, v91, v98 :: v_dual_sub_f32 v73, v74, v99
	v_dual_add_f32 v89, v99, v74 :: v_dual_sub_f32 v90, v84, v77
	v_sub_f32_e32 v82, v67, v95
	v_add_f32_e32 v67, v71, v75
	v_sub_f32_e32 v71, v87, v76
	v_add_f32_e32 v93, v79, v104
	;; [unrolled: 2-line block ×3, first 2 shown]
	ds_store_2addr_b64 v206, v[40:41], v[44:45] offset1:12
	ds_store_2addr_b64 v206, v[46:47], v[48:49] offset0:24 offset1:36
	ds_store_2addr_b64 v206, v[50:51], v[52:53] offset0:48 offset1:60
	ds_store_b64 v206, v[54:55] offset:576
	ds_store_2addr_b64 v205, v[42:43], v[56:57] offset1:12
	ds_store_2addr_b64 v205, v[58:59], v[60:61] offset0:24 offset1:36
	ds_store_2addr_b64 v205, v[80:81], v[82:83] offset0:48 offset1:60
	ds_store_b64 v205, v[66:67] offset:576
	;; [unrolled: 4-line block ×3, first 2 shown]
	global_wb scope:SCOPE_SE
	s_wait_dscnt 0x0
	s_barrier_signal -1
	s_barrier_wait -1
	global_inv scope:SCOPE_SE
	ds_load_2addr_b64 v[84:87], v173 offset1:84
	ds_load_2addr_b64 v[44:47], v173 offset0:168 offset1:252
	ds_load_2addr_b64 v[74:77], v101 offset0:80 offset1:164
	;; [unrolled: 1-line block ×4, first 2 shown]
	ds_load_b64 v[98:99], v173 offset:6720
	s_and_saveexec_b32 s1, s0
	s_cbranch_execz .LBB0_13
; %bb.12:
	v_add_nc_u32_e32 v40, 0x400, v173
	v_add_nc_u32_e32 v41, 0x1400, v173
	ds_load_2addr_b64 v[80:83], v173 offset0:44 offset1:128
	ds_load_2addr_b64 v[70:73], v101 offset0:124 offset1:208
	;; [unrolled: 1-line block ×5, first 2 shown]
	ds_load_b64 v[96:97], v173 offset:7072
.LBB0_13:
	s_wait_alu 0xfffe
	s_or_b32 exec_lo, exec_lo, s1
	v_mad_co_u64_u32 v[56:57], null, 0x50, v174, s[2:3]
	s_clause 0x1
	global_load_b128 v[40:43], v[56:57], off offset:656
	global_load_b128 v[52:55], v[56:57], off offset:672
	s_wait_loadcnt_dscnt 0x104
	v_mul_f32_e32 v48, v45, v43
	v_mul_f32_e32 v104, v44, v43
	s_wait_loadcnt 0x0
	v_mul_f32_e32 v106, v46, v53
	s_wait_dscnt 0x3
	v_mul_f32_e32 v108, v74, v55
	v_fma_f32 v103, v44, v42, -v48
	v_mul_f32_e32 v44, v47, v53
	v_fmac_f32_e32 v104, v45, v42
	v_fmac_f32_e32 v106, v47, v52
	s_delay_alu instid0(VALU_DEP_3) | instskip(SKIP_1) | instid1(VALU_DEP_1)
	v_fma_f32 v105, v46, v52, -v44
	v_mul_f32_e32 v44, v75, v55
	v_fma_f32 v107, v74, v54, -v44
	s_clause 0x1
	global_load_b128 v[48:51], v[56:57], off offset:688
	global_load_b128 v[44:47], v[56:57], off offset:704
	s_wait_loadcnt_dscnt 0x1
	v_dual_mul_f32 v74, v77, v49 :: v_dual_mul_f32 v119, v58, v47
	v_mul_f32_e32 v112, v62, v51
	v_mul_f32_e32 v110, v76, v49
	s_delay_alu instid0(VALU_DEP_3) | instskip(SKIP_4) | instid1(VALU_DEP_4)
	v_fma_f32 v109, v76, v48, -v74
	v_mul_f32_e32 v74, v63, v51
	v_fmac_f32_e32 v119, v59, v46
	v_fmac_f32_e32 v112, v63, v50
	;; [unrolled: 1-line block ×3, first 2 shown]
	v_fma_f32 v111, v62, v50, -v74
	v_mul_f32_e32 v62, v65, v45
	s_delay_alu instid0(VALU_DEP_2) | instskip(NEXT) | instid1(VALU_DEP_2)
	v_dual_mul_f32 v170, v86, v41 :: v_dual_add_f32 v223, v109, v111
	v_fma_f32 v113, v64, v44, -v62
	v_subrev_nc_u32_e32 v62, 40, v174
	s_delay_alu instid0(VALU_DEP_3) | instskip(SKIP_1) | instid1(VALU_DEP_4)
	v_fmac_f32_e32 v170, v87, v40
	v_fmac_f32_e32 v108, v75, v54
	v_dual_sub_f32 v224, v109, v111 :: v_dual_add_f32 v219, v107, v113
	s_delay_alu instid0(VALU_DEP_4) | instskip(NEXT) | instid1(VALU_DEP_2)
	v_cndmask_b32_e64 v62, v62, v78, s0
	v_mul_f32_e32 v226, 0x3f68dda4, v224
	s_delay_alu instid0(VALU_DEP_2) | instskip(SKIP_1) | instid1(VALU_DEP_2)
	v_mul_i32_i24_e32 v63, 0x50, v62
	v_mul_hi_i32_i24_e32 v62, 0x50, v62
	v_add_co_u32 v74, s1, s2, v63
	s_wait_alu 0xf1ff
	s_delay_alu instid0(VALU_DEP_2) | instskip(SKIP_1) | instid1(VALU_DEP_1)
	v_add_co_ci_u32_e64 v75, s1, s3, v62, s1
	v_mul_f32_e32 v62, v59, v47
	v_fma_f32 v118, v58, v46, -v62
	s_clause 0x1
	global_load_b128 v[76:79], v[56:57], off offset:720
	global_load_b128 v[56:59], v[74:75], off offset:656
	v_dual_mul_f32 v114, v64, v45 :: v_dual_add_f32 v215, v105, v118
	v_sub_f32_e32 v216, v105, v118
	s_wait_loadcnt_dscnt 0x100
	s_delay_alu instid0(VALU_DEP_2) | instskip(SKIP_3) | instid1(VALU_DEP_4)
	v_dual_fmac_f32 v114, v65, v44 :: v_dual_mul_f32 v169, v98, v79
	v_mul_f32_e32 v62, v61, v77
	v_mul_f32_e32 v121, v60, v77
	v_add_f32_e32 v217, v106, v119
	v_dual_sub_f32 v214, v106, v119 :: v_dual_fmac_f32 v169, v99, v78
	s_delay_alu instid0(VALU_DEP_4) | instskip(NEXT) | instid1(VALU_DEP_4)
	v_fma_f32 v120, v60, v76, -v62
	v_fmac_f32_e32 v121, v61, v76
	s_delay_alu instid0(VALU_DEP_3) | instskip(NEXT) | instid1(VALU_DEP_2)
	v_dual_add_f32 v211, v170, v169 :: v_dual_mul_f32 v60, v99, v79
	v_add_f32_e32 v213, v104, v121
	s_delay_alu instid0(VALU_DEP_4) | instskip(SKIP_1) | instid1(VALU_DEP_4)
	v_dual_sub_f32 v208, v104, v121 :: v_dual_add_f32 v209, v103, v120
	v_sub_f32_e32 v212, v103, v120
	v_fma_f32 v122, v98, v78, -v60
	s_delay_alu instid0(VALU_DEP_3) | instskip(SKIP_1) | instid1(VALU_DEP_4)
	v_dual_mul_f32 v60, v87, v41 :: v_dual_mul_f32 v65, 0x3f7d64f0, v208
	v_mul_f32_e32 v98, 0xbf0a6770, v214
	v_mul_f32_e32 v230, 0x3f0a6770, v212
	;; [unrolled: 1-line block ×3, first 2 shown]
	s_delay_alu instid0(VALU_DEP_4) | instskip(SKIP_3) | instid1(VALU_DEP_4)
	v_fma_f32 v171, v86, v40, -v60
	v_fma_f32 v61, 0xbe11bafb, v209, -v65
	v_fmac_f32_e32 v65, 0xbe11bafb, v209
	v_fmamk_f32 v231, v213, 0x3f575c64, v230
	v_dual_mul_f32 v87, 0x3f7d64f0, v212 :: v_dual_sub_f32 v210, v171, v122
	v_dual_sub_f32 v172, v170, v169 :: v_dual_add_f32 v207, v171, v122
	v_mul_f32_e32 v239, 0x3e903f40, v212
	s_delay_alu instid0(VALU_DEP_3) | instskip(NEXT) | instid1(VALU_DEP_4)
	v_fmamk_f32 v62, v213, 0xbe11bafb, v87
	v_mul_f32_e32 v229, 0xbe903f40, v210
	s_delay_alu instid0(VALU_DEP_4) | instskip(SKIP_3) | instid1(VALU_DEP_4)
	v_mul_f32_e32 v64, 0xbf4178ce, v172
	v_mul_f32_e32 v227, 0xbe903f40, v172
	;; [unrolled: 1-line block ×3, first 2 shown]
	v_dual_mul_f32 v238, 0xbf7d64f0, v210 :: v_dual_add_f32 v171, v84, v171
	v_fma_f32 v60, 0xbf27a4f4, v207, -v64
	v_fmac_f32_e32 v64, 0xbf27a4f4, v207
	s_delay_alu instid0(VALU_DEP_2) | instskip(NEXT) | instid1(VALU_DEP_1)
	v_add_f32_e32 v60, v84, v60
	v_dual_add_f32 v60, v61, v60 :: v_dual_fmamk_f32 v61, v211, 0xbf27a4f4, v86
	s_delay_alu instid0(VALU_DEP_1) | instskip(NEXT) | instid1(VALU_DEP_1)
	v_add_f32_e32 v61, v85, v61
	v_add_f32_e32 v61, v62, v61
	v_fma_f32 v62, 0x3f575c64, v215, -v98
	v_add_f32_e32 v225, v110, v112
	v_sub_f32_e32 v222, v110, v112
	v_sub_f32_e32 v220, v107, v113
	v_mul_f32_e32 v228, 0x3f0a6770, v208
	v_add_f32_e32 v60, v62, v60
	v_fmamk_f32 v62, v217, 0x3f575c64, v99
	v_mul_f32_e32 v117, 0x3f68dda4, v222
	v_mul_f32_e32 v116, 0xbe903f40, v220
	v_fma_f32 v63, 0x3f575c64, v209, -v228
	s_delay_alu instid0(VALU_DEP_4) | instskip(SKIP_2) | instid1(VALU_DEP_1)
	v_add_f32_e32 v61, v62, v61
	v_add_f32_e32 v221, v108, v114
	v_sub_f32_e32 v218, v108, v114
	v_mul_f32_e32 v115, 0xbe903f40, v218
	s_delay_alu instid0(VALU_DEP_1) | instskip(NEXT) | instid1(VALU_DEP_1)
	v_fma_f32 v62, 0xbf75a155, v219, -v115
	v_dual_fmac_f32 v115, 0xbf75a155, v219 :: v_dual_add_f32 v60, v62, v60
	v_fmamk_f32 v62, v221, 0xbf75a155, v116
	s_delay_alu instid0(VALU_DEP_1) | instskip(SKIP_2) | instid1(VALU_DEP_2)
	v_add_f32_e32 v61, v62, v61
	v_fma_f32 v62, 0x3ed4b147, v223, -v117
	v_dual_fmac_f32 v117, 0x3ed4b147, v223 :: v_dual_add_f32 v170, v85, v170
	v_add_f32_e32 v60, v62, v60
	v_fmamk_f32 v62, v225, 0x3ed4b147, v226
	s_delay_alu instid0(VALU_DEP_1) | instskip(SKIP_1) | instid1(VALU_DEP_1)
	v_add_f32_e32 v61, v62, v61
	v_fma_f32 v62, 0xbf75a155, v207, -v227
	v_dual_fmac_f32 v227, 0xbf75a155, v207 :: v_dual_add_f32 v62, v84, v62
	s_delay_alu instid0(VALU_DEP_1) | instskip(SKIP_1) | instid1(VALU_DEP_1)
	v_add_f32_e32 v62, v63, v62
	v_fmamk_f32 v63, v211, 0xbf75a155, v229
	v_add_f32_e32 v63, v85, v63
	s_delay_alu instid0(VALU_DEP_1) | instskip(SKIP_1) | instid1(VALU_DEP_1)
	v_add_f32_e32 v63, v231, v63
	v_mul_f32_e32 v231, 0xbf4178ce, v214
	v_fma_f32 v232, 0xbf27a4f4, v215, -v231
	s_delay_alu instid0(VALU_DEP_1) | instskip(SKIP_1) | instid1(VALU_DEP_1)
	v_dual_fmac_f32 v231, 0xbf27a4f4, v215 :: v_dual_add_f32 v62, v232, v62
	v_mul_f32_e32 v232, 0xbf4178ce, v216
	v_fmamk_f32 v233, v217, 0xbf27a4f4, v232
	s_delay_alu instid0(VALU_DEP_1) | instskip(SKIP_2) | instid1(VALU_DEP_2)
	v_add_f32_e32 v63, v233, v63
	v_mul_f32_e32 v233, 0x3f68dda4, v218
	v_fmac_f32_e32 v98, 0x3f575c64, v215
	v_fma_f32 v234, 0x3ed4b147, v219, -v233
	s_delay_alu instid0(VALU_DEP_1) | instskip(SKIP_1) | instid1(VALU_DEP_1)
	v_dual_fmac_f32 v233, 0x3ed4b147, v219 :: v_dual_add_f32 v62, v234, v62
	v_mul_f32_e32 v234, 0x3f68dda4, v220
	v_fmamk_f32 v235, v221, 0x3ed4b147, v234
	s_delay_alu instid0(VALU_DEP_1) | instskip(SKIP_3) | instid1(VALU_DEP_3)
	v_add_f32_e32 v63, v235, v63
	v_mul_f32_e32 v235, 0xbf7d64f0, v222
	v_mul_f32_e32 v241, 0x3f68dda4, v216
	;; [unrolled: 1-line block ×3, first 2 shown]
	v_fma_f32 v236, 0xbe11bafb, v223, -v235
	s_delay_alu instid0(VALU_DEP_1) | instskip(SKIP_1) | instid1(VALU_DEP_1)
	v_dual_fmac_f32 v235, 0xbe11bafb, v223 :: v_dual_add_f32 v62, v236, v62
	v_mul_f32_e32 v236, 0xbf7d64f0, v224
	v_fmamk_f32 v237, v225, 0xbe11bafb, v236
	s_delay_alu instid0(VALU_DEP_1)
	v_add_f32_e32 v63, v237, v63
	ds_store_2addr_b64 v101, v[60:61], v[62:63] offset0:80 offset1:164
	v_fma_f32 v61, 0xbf27a4f4, v211, -v86
	v_fma_f32 v62, 0xbe11bafb, v213, -v87
	;; [unrolled: 1-line block ×3, first 2 shown]
	v_add_f32_e32 v60, v84, v64
	v_mul_f32_e32 v229, 0xbf4178ce, v212
	v_add_f32_e32 v61, v85, v61
	s_wait_loadcnt 0x0
	v_mul_f32_e32 v87, v66, v59
	v_add_f32_e32 v63, v85, v63
	s_delay_alu instid0(VALU_DEP_3) | instskip(SKIP_1) | instid1(VALU_DEP_2)
	v_dual_add_f32 v60, v65, v60 :: v_dual_add_f32 v61, v62, v61
	v_fma_f32 v62, 0x3f575c64, v217, -v99
	v_dual_fmac_f32 v87, v67, v58 :: v_dual_add_f32 v60, v98, v60
	v_mul_f32_e32 v245, 0xbf4178ce, v224
	s_delay_alu instid0(VALU_DEP_3) | instskip(SKIP_2) | instid1(VALU_DEP_2)
	v_add_f32_e32 v61, v62, v61
	v_fma_f32 v62, 0xbf75a155, v221, -v116
	v_fmac_f32_e32 v228, 0x3f575c64, v209
	v_dual_add_f32 v60, v115, v60 :: v_dual_add_f32 v61, v62, v61
	v_fma_f32 v62, 0x3ed4b147, v225, -v226
	v_fma_f32 v64, 0x3f575c64, v213, -v230
	s_delay_alu instid0(VALU_DEP_2) | instskip(SKIP_1) | instid1(VALU_DEP_3)
	v_dual_add_f32 v60, v117, v60 :: v_dual_add_f32 v61, v62, v61
	v_add_f32_e32 v62, v84, v227
	v_add_f32_e32 v63, v64, v63
	v_fma_f32 v64, 0xbf27a4f4, v217, -v232
	s_delay_alu instid0(VALU_DEP_3) | instskip(NEXT) | instid1(VALU_DEP_2)
	v_add_f32_e32 v62, v228, v62
	v_dual_mul_f32 v228, 0xbf68dda4, v210 :: v_dual_add_f32 v63, v64, v63
	v_fma_f32 v64, 0x3ed4b147, v221, -v234
	s_delay_alu instid0(VALU_DEP_3) | instskip(NEXT) | instid1(VALU_DEP_2)
	v_dual_add_f32 v62, v231, v62 :: v_dual_mul_f32 v231, 0x3e903f40, v216
	v_add_f32_e32 v63, v64, v63
	v_fma_f32 v64, 0xbe11bafb, v225, -v236
	s_delay_alu instid0(VALU_DEP_3) | instskip(NEXT) | instid1(VALU_DEP_1)
	v_dual_add_f32 v62, v233, v62 :: v_dual_mul_f32 v233, 0x3f7d64f0, v220
	v_dual_add_f32 v63, v64, v63 :: v_dual_add_f32 v62, v235, v62
	v_mul_f32_e32 v235, 0x3f0a6770, v224
	v_fma_f32 v64, 0xbf75a155, v213, -v239
	ds_store_2addr_b64 v102, v[62:63], v[60:61] offset0:120 offset1:204
	v_mul_f32_e32 v60, 0xbf68dda4, v172
	v_mul_f32_e32 v61, 0xbf4178ce, v208
	v_fma_f32 v62, 0xbf27a4f4, v213, -v229
	v_mul_f32_e32 v63, 0x3e903f40, v208
	v_mul_f32_e32 v208, 0xbf68dda4, v208
	v_fma_f32 v226, 0x3ed4b147, v207, -v60
	v_fmac_f32_e32 v60, 0x3ed4b147, v207
	v_fma_f32 v227, 0xbf27a4f4, v209, -v61
	v_fmac_f32_e32 v61, 0xbf27a4f4, v209
	v_fma_f32 v237, 0xbf75a155, v209, -v63
	s_delay_alu instid0(VALU_DEP_4) | instskip(NEXT) | instid1(VALU_DEP_1)
	v_dual_fmac_f32 v63, 0xbf75a155, v209 :: v_dual_add_f32 v60, v84, v60
	v_add_f32_e32 v60, v61, v60
	v_fma_f32 v61, 0x3ed4b147, v211, -v228
	s_delay_alu instid0(VALU_DEP_1) | instskip(NEXT) | instid1(VALU_DEP_1)
	v_add_f32_e32 v61, v85, v61
	v_dual_add_f32 v61, v62, v61 :: v_dual_mul_f32 v62, 0x3e903f40, v214
	s_delay_alu instid0(VALU_DEP_1) | instskip(SKIP_1) | instid1(VALU_DEP_1)
	v_fma_f32 v230, 0xbf75a155, v215, -v62
	v_fmac_f32_e32 v62, 0xbf75a155, v215
	v_add_f32_e32 v60, v62, v60
	v_fma_f32 v62, 0xbf75a155, v217, -v231
	s_delay_alu instid0(VALU_DEP_1) | instskip(NEXT) | instid1(VALU_DEP_1)
	v_dual_add_f32 v61, v62, v61 :: v_dual_mul_f32 v62, 0x3f7d64f0, v218
	v_fma_f32 v232, 0xbe11bafb, v219, -v62
	v_fmac_f32_e32 v62, 0xbe11bafb, v219
	s_delay_alu instid0(VALU_DEP_1) | instskip(SKIP_1) | instid1(VALU_DEP_1)
	v_add_f32_e32 v60, v62, v60
	v_fma_f32 v62, 0xbe11bafb, v221, -v233
	v_dual_add_f32 v61, v62, v61 :: v_dual_mul_f32 v62, 0x3f0a6770, v222
	s_delay_alu instid0(VALU_DEP_1) | instskip(SKIP_1) | instid1(VALU_DEP_1)
	v_fma_f32 v234, 0x3f575c64, v223, -v62
	v_fmac_f32_e32 v62, 0x3f575c64, v223
	v_add_f32_e32 v60, v62, v60
	v_fma_f32 v62, 0x3f575c64, v225, -v235
	s_delay_alu instid0(VALU_DEP_1) | instskip(NEXT) | instid1(VALU_DEP_1)
	v_dual_add_f32 v61, v62, v61 :: v_dual_mul_f32 v62, 0xbf7d64f0, v172
	v_fma_f32 v236, 0xbe11bafb, v207, -v62
	v_fmac_f32_e32 v62, 0xbe11bafb, v207
	s_delay_alu instid0(VALU_DEP_1) | instskip(NEXT) | instid1(VALU_DEP_1)
	v_add_f32_e32 v62, v84, v62
	v_add_f32_e32 v62, v63, v62
	v_fma_f32 v63, 0xbe11bafb, v211, -v238
	s_delay_alu instid0(VALU_DEP_1) | instskip(NEXT) | instid1(VALU_DEP_1)
	v_add_f32_e32 v63, v85, v63
	v_dual_add_f32 v63, v64, v63 :: v_dual_mul_f32 v64, 0x3f68dda4, v214
	s_delay_alu instid0(VALU_DEP_1) | instskip(SKIP_1) | instid1(VALU_DEP_1)
	v_fma_f32 v240, 0x3ed4b147, v215, -v64
	v_fmac_f32_e32 v64, 0x3ed4b147, v215
	v_add_f32_e32 v62, v64, v62
	v_fma_f32 v64, 0x3ed4b147, v217, -v241
	s_delay_alu instid0(VALU_DEP_1) | instskip(NEXT) | instid1(VALU_DEP_1)
	v_dual_add_f32 v63, v64, v63 :: v_dual_mul_f32 v64, 0xbf0a6770, v218
	v_fma_f32 v242, 0x3f575c64, v219, -v64
	v_fmac_f32_e32 v64, 0x3f575c64, v219
	s_delay_alu instid0(VALU_DEP_1) | instskip(SKIP_1) | instid1(VALU_DEP_1)
	v_add_f32_e32 v62, v64, v62
	v_fma_f32 v64, 0x3f575c64, v221, -v243
	v_dual_add_f32 v63, v64, v63 :: v_dual_mul_f32 v64, 0xbf4178ce, v222
	s_delay_alu instid0(VALU_DEP_1) | instskip(SKIP_1) | instid1(VALU_DEP_1)
	v_fma_f32 v244, 0xbf27a4f4, v223, -v64
	v_fmac_f32_e32 v64, 0xbf27a4f4, v223
	v_add_f32_e32 v62, v64, v62
	v_fma_f32 v64, 0xbf27a4f4, v225, -v245
	s_delay_alu instid0(VALU_DEP_1) | instskip(SKIP_2) | instid1(VALU_DEP_1)
	v_add_f32_e32 v63, v64, v63
	ds_store_2addr_b64 v100, v[62:63], v[60:61] offset0:160 offset1:244
	v_mul_f32_e32 v60, v67, v59
	v_fma_f32 v86, v66, v58, -v60
	s_clause 0x1
	global_load_b128 v[64:67], v[74:75], off offset:672
	global_load_b128 v[60:63], v[74:75], off offset:688
	s_wait_loadcnt 0x1
	v_mul_f32_e32 v98, v69, v65
	v_mul_f32_e32 v100, v68, v65
	;; [unrolled: 1-line block ×3, first 2 shown]
	s_wait_loadcnt 0x0
	v_mul_f32_e32 v116, v72, v61
	v_fma_f32 v98, v68, v64, -v98
	v_mul_f32_e32 v68, v71, v67
	v_fmac_f32_e32 v100, v69, v64
	v_fmac_f32_e32 v102, v71, v66
	;; [unrolled: 1-line block ×3, first 2 shown]
	s_delay_alu instid0(VALU_DEP_4) | instskip(SKIP_1) | instid1(VALU_DEP_1)
	v_fma_f32 v99, v70, v66, -v68
	v_mul_f32_e32 v68, v73, v61
	v_fma_f32 v101, v72, v60, -v68
	v_mul_f32_e32 v68, v93, v63
	s_delay_alu instid0(VALU_DEP_1)
	v_fma_f32 v115, v92, v62, -v68
	s_clause 0x1
	global_load_b128 v[68:71], v[74:75], off offset:704
	global_load_b128 v[72:75], v[74:75], off offset:720
	v_mul_f32_e32 v92, v92, v63
	s_wait_loadcnt 0x1
	s_delay_alu instid0(VALU_DEP_1) | instskip(SKIP_1) | instid1(VALU_DEP_2)
	v_dual_fmac_f32 v92, v93, v62 :: v_dual_mul_f32 v93, v95, v69
	v_mul_f32_e32 v117, v94, v69
	v_fma_f32 v93, v94, v68, -v93
	s_delay_alu instid0(VALU_DEP_2) | instskip(SKIP_1) | instid1(VALU_DEP_2)
	v_dual_mul_f32 v94, v89, v71 :: v_dual_fmac_f32 v117, v95, v68
	v_mul_f32_e32 v95, v88, v71
	v_fma_f32 v94, v88, v70, -v94
	s_wait_loadcnt 0x0
	s_delay_alu instid0(VALU_DEP_2) | instskip(SKIP_1) | instid1(VALU_DEP_2)
	v_dual_mul_f32 v88, v91, v73 :: v_dual_fmac_f32 v95, v89, v70
	v_mul_f32_e32 v89, v90, v73
	v_fma_f32 v88, v90, v72, -v88
	v_mul_f32_e32 v90, 0xbf0a6770, v172
	s_delay_alu instid0(VALU_DEP_3) | instskip(SKIP_1) | instid1(VALU_DEP_3)
	v_dual_mul_f32 v172, 0xbf0a6770, v210 :: v_dual_fmac_f32 v89, v91, v72
	v_fmamk_f32 v210, v211, 0x3ed4b147, v228
	v_fma_f32 v91, 0x3f575c64, v207, -v90
	v_fmac_f32_e32 v90, 0x3f575c64, v207
	s_delay_alu instid0(VALU_DEP_4) | instskip(SKIP_1) | instid1(VALU_DEP_4)
	v_fmamk_f32 v207, v211, 0x3f575c64, v172
	v_fma_f32 v172, 0x3f575c64, v211, -v172
	v_dual_fmamk_f32 v211, v211, 0xbe11bafb, v238 :: v_dual_add_f32 v228, v84, v91
	s_delay_alu instid0(VALU_DEP_3) | instskip(SKIP_1) | instid1(VALU_DEP_4)
	v_dual_add_f32 v238, v84, v90 :: v_dual_add_f32 v207, v85, v207
	v_add_f32_e32 v90, v84, v226
	v_add_f32_e32 v172, v85, v172
	;; [unrolled: 1-line block ×4, first 2 shown]
	v_dual_fmamk_f32 v85, v213, 0xbf27a4f4, v229 :: v_dual_add_f32 v210, v84, v236
	v_add_f32_e32 v84, v227, v90
	v_fmamk_f32 v90, v217, 0xbf75a155, v231
	s_delay_alu instid0(VALU_DEP_3) | instskip(NEXT) | instid1(VALU_DEP_3)
	v_add_f32_e32 v85, v85, v91
	v_dual_fmamk_f32 v91, v213, 0xbf75a155, v239 :: v_dual_add_f32 v84, v230, v84
	s_delay_alu instid0(VALU_DEP_2) | instskip(NEXT) | instid1(VALU_DEP_2)
	v_dual_add_f32 v85, v90, v85 :: v_dual_fmamk_f32 v90, v221, 0xbe11bafb, v233
	v_dual_add_f32 v91, v91, v211 :: v_dual_add_f32 v84, v232, v84
	v_mul_f32_e32 v211, 0xbf7d64f0, v216
	s_delay_alu instid0(VALU_DEP_3) | instskip(SKIP_1) | instid1(VALU_DEP_4)
	v_dual_mul_f32 v216, 0xbe903f40, v222 :: v_dual_add_f32 v85, v90, v85
	v_fmamk_f32 v90, v225, 0x3f575c64, v235
	v_add_f32_e32 v84, v234, v84
	s_delay_alu instid0(VALU_DEP_2) | instskip(SKIP_1) | instid1(VALU_DEP_1)
	v_dual_add_f32 v85, v90, v85 :: v_dual_add_f32 v90, v237, v210
	v_fmamk_f32 v210, v217, 0x3ed4b147, v241
	v_dual_add_f32 v90, v240, v90 :: v_dual_add_f32 v91, v210, v91
	v_fmamk_f32 v210, v221, 0x3f575c64, v243
	s_delay_alu instid0(VALU_DEP_2) | instskip(NEXT) | instid1(VALU_DEP_2)
	v_add_f32_e32 v90, v242, v90
	v_dual_add_f32 v91, v210, v91 :: v_dual_fmamk_f32 v210, v225, 0xbf27a4f4, v245
	s_delay_alu instid0(VALU_DEP_1)
	v_dual_add_f32 v90, v244, v90 :: v_dual_add_f32 v91, v210, v91
	v_mul_f32_e32 v210, 0xbf68dda4, v212
	v_mul_f32_e32 v212, 0xbf4178ce, v218
	;; [unrolled: 1-line block ×3, first 2 shown]
	ds_store_2addr_b64 v173, v[84:85], v[90:91] offset0:168 offset1:252
	v_add_f32_e32 v91, v170, v104
	v_fmamk_f32 v85, v213, 0x3ed4b147, v210
	v_fma_f32 v84, 0x3ed4b147, v209, -v208
	v_add_f32_e32 v104, v87, v89
	s_delay_alu instid0(VALU_DEP_4) | instskip(NEXT) | instid1(VALU_DEP_4)
	v_add_f32_e32 v91, v91, v106
	v_add_f32_e32 v85, v85, v207
	v_mul_f32_e32 v207, 0xbf7d64f0, v214
	v_mul_f32_e32 v214, 0xbf4178ce, v220
	s_delay_alu instid0(VALU_DEP_4) | instskip(NEXT) | instid1(VALU_DEP_3)
	v_add_f32_e32 v91, v91, v108
	v_fma_f32 v90, 0xbe11bafb, v215, -v207
	v_fmac_f32_e32 v207, 0xbe11bafb, v215
	s_delay_alu instid0(VALU_DEP_3) | instskip(NEXT) | instid1(VALU_DEP_1)
	v_dual_add_f32 v91, v91, v110 :: v_dual_add_f32 v84, v84, v228
	v_add_f32_e32 v91, v91, v112
	s_delay_alu instid0(VALU_DEP_2) | instskip(NEXT) | instid1(VALU_DEP_2)
	v_add_f32_e32 v84, v90, v84
	v_dual_fmamk_f32 v90, v217, 0xbe11bafb, v211 :: v_dual_add_f32 v91, v91, v114
	s_delay_alu instid0(VALU_DEP_1) | instskip(SKIP_2) | instid1(VALU_DEP_4)
	v_dual_sub_f32 v114, v100, v95 :: v_dual_add_f32 v85, v90, v85
	v_fma_f32 v90, 0xbf27a4f4, v219, -v212
	v_fmac_f32_e32 v212, 0xbf27a4f4, v219
	v_add_f32_e32 v91, v91, v119
	s_delay_alu instid0(VALU_DEP_4) | instskip(NEXT) | instid1(VALU_DEP_4)
	v_dual_sub_f32 v119, v102, v117 :: v_dual_mul_f32 v106, 0xbf7d64f0, v114
	v_add_f32_e32 v84, v90, v84
	s_delay_alu instid0(VALU_DEP_3) | instskip(NEXT) | instid1(VALU_DEP_1)
	v_dual_fmamk_f32 v90, v221, 0xbf27a4f4, v214 :: v_dual_add_f32 v91, v91, v121
	v_dual_mul_f32 v108, 0xbf4178ce, v119 :: v_dual_add_f32 v85, v90, v85
	v_fma_f32 v90, 0xbf75a155, v223, -v216
	s_delay_alu instid0(VALU_DEP_3) | instskip(NEXT) | instid1(VALU_DEP_2)
	v_dual_add_f32 v91, v91, v169 :: v_dual_fmac_f32 v216, 0xbf75a155, v223
	v_add_f32_e32 v84, v90, v84
	v_fmamk_f32 v90, v225, 0xbf75a155, v218
	s_delay_alu instid0(VALU_DEP_1) | instskip(NEXT) | instid1(VALU_DEP_1)
	v_dual_add_f32 v85, v90, v85 :: v_dual_add_f32 v90, v171, v103
	v_add_f32_e32 v90, v90, v105
	s_delay_alu instid0(VALU_DEP_1) | instskip(NEXT) | instid1(VALU_DEP_1)
	v_add_f32_e32 v90, v90, v107
	v_add_f32_e32 v90, v90, v109
	s_delay_alu instid0(VALU_DEP_1) | instskip(NEXT) | instid1(VALU_DEP_1)
	v_add_f32_e32 v90, v90, v111
	v_add_f32_e32 v90, v90, v113
	s_delay_alu instid0(VALU_DEP_1) | instskip(NEXT) | instid1(VALU_DEP_1)
	v_dual_sub_f32 v113, v87, v89 :: v_dual_add_f32 v90, v90, v118
	v_dual_sub_f32 v118, v86, v88 :: v_dual_mul_f32 v105, 0xbf68dda4, v113
	s_delay_alu instid0(VALU_DEP_2) | instskip(NEXT) | instid1(VALU_DEP_2)
	v_add_f32_e32 v90, v90, v120
	v_dual_sub_f32 v120, v116, v92 :: v_dual_mul_f32 v107, 0xbf68dda4, v118
	v_fmac_f32_e32 v208, 0x3ed4b147, v209
	s_delay_alu instid0(VALU_DEP_3)
	v_add_f32_e32 v90, v90, v122
	v_sub_f32_e32 v122, v98, v94
	ds_store_2addr_b64 v173, v[90:91], v[84:85] offset1:84
	v_mul_f32_e32 v84, v97, v75
	v_mul_f32_e32 v85, v96, v75
	v_fma_f32 v90, 0x3ed4b147, v213, -v210
	v_fma_f32 v91, 0xbe11bafb, v217, -v211
	v_mul_f32_e32 v110, 0xbf7d64f0, v122
	v_fma_f32 v84, v96, v74, -v84
	v_add_f32_e32 v96, v208, v238
	v_dual_fmac_f32 v85, v97, v74 :: v_dual_add_f32 v90, v90, v172
	v_fma_f32 v97, 0xbf27a4f4, v221, -v214
	v_sub_f32_e32 v208, v101, v115
	s_delay_alu instid0(VALU_DEP_4) | instskip(SKIP_4) | instid1(VALU_DEP_4)
	v_add_f32_e32 v96, v207, v96
	v_sub_f32_e32 v210, v99, v93
	v_add_f32_e32 v90, v91, v90
	v_fma_f32 v91, 0xbf75a155, v225, -v218
	v_mul_f32_e32 v214, 0x3e903f40, v122
	v_dual_add_f32 v96, v212, v96 :: v_dual_mul_f32 v111, 0xbf4178ce, v210
	s_delay_alu instid0(VALU_DEP_4) | instskip(SKIP_1) | instid1(VALU_DEP_3)
	v_dual_add_f32 v90, v97, v90 :: v_dual_add_f32 v97, v100, v95
	v_mul_f32_e32 v212, 0xbf4178ce, v118
	v_add_f32_e32 v226, v216, v96
	s_delay_alu instid0(VALU_DEP_3) | instskip(SKIP_1) | instid1(VALU_DEP_4)
	v_dual_mul_f32 v216, v82, v57 :: v_dual_add_f32 v227, v91, v90
	v_fma_f32 v91, 0x3ed4b147, v104, -v107
	v_fma_f32 v207, 0xbf27a4f4, v104, -v212
	s_delay_alu instid0(VALU_DEP_3) | instskip(SKIP_4) | instid1(VALU_DEP_2)
	v_dual_mul_f32 v215, 0x3f7d64f0, v210 :: v_dual_fmac_f32 v216, v83, v56
	v_mul_f32_e32 v83, v83, v57
	ds_store_b64 v173, v[226:227] offset:6720
	v_sub_f32_e32 v219, v216, v85
	v_fma_f32 v217, v82, v56, -v83
	v_dual_add_f32 v220, v216, v85 :: v_dual_mul_f32 v221, 0xbf0a6770, v219
	s_delay_alu instid0(VALU_DEP_2) | instskip(SKIP_2) | instid1(VALU_DEP_3)
	v_add_f32_e32 v218, v217, v84
	v_sub_f32_e32 v222, v217, v84
	v_mul_f32_e32 v224, 0xbf68dda4, v219
	v_fmamk_f32 v82, v218, 0x3f575c64, v221
	s_delay_alu instid0(VALU_DEP_3) | instskip(SKIP_1) | instid1(VALU_DEP_3)
	v_mul_f32_e32 v223, 0xbf0a6770, v222
	v_mul_f32_e32 v225, 0xbf68dda4, v222
	v_dual_add_f32 v83, v80, v82 :: v_dual_add_f32 v82, v86, v88
	s_delay_alu instid0(VALU_DEP_1) | instskip(NEXT) | instid1(VALU_DEP_1)
	v_fmamk_f32 v90, v82, 0x3ed4b147, v105
	v_add_f32_e32 v90, v90, v83
	v_fma_f32 v83, 0x3f575c64, v220, -v223
	s_delay_alu instid0(VALU_DEP_1) | instskip(NEXT) | instid1(VALU_DEP_1)
	v_add_f32_e32 v83, v81, v83
	v_add_f32_e32 v91, v91, v83
	;; [unrolled: 1-line block ×3, first 2 shown]
	s_delay_alu instid0(VALU_DEP_1) | instskip(NEXT) | instid1(VALU_DEP_1)
	v_fmamk_f32 v96, v83, 0xbe11bafb, v106
	v_add_f32_e32 v96, v96, v90
	v_fma_f32 v90, 0xbe11bafb, v97, -v110
	s_delay_alu instid0(VALU_DEP_1) | instskip(NEXT) | instid1(VALU_DEP_1)
	v_dual_add_f32 v91, v90, v91 :: v_dual_add_f32 v90, v99, v93
	v_fmamk_f32 v103, v90, 0xbf27a4f4, v108
	s_delay_alu instid0(VALU_DEP_1) | instskip(NEXT) | instid1(VALU_DEP_1)
	v_dual_add_f32 v103, v103, v96 :: v_dual_add_f32 v96, v102, v117
	v_fma_f32 v109, 0xbf27a4f4, v96, -v111
	s_delay_alu instid0(VALU_DEP_1) | instskip(SKIP_2) | instid1(VALU_DEP_1)
	v_add_f32_e32 v121, v109, v91
	v_add_f32_e32 v91, v101, v115
	v_mul_f32_e32 v109, 0xbe903f40, v120
	v_fmamk_f32 v112, v91, 0xbf75a155, v109
	s_delay_alu instid0(VALU_DEP_1) | instskip(SKIP_2) | instid1(VALU_DEP_1)
	v_add_f32_e32 v169, v112, v103
	v_add_f32_e32 v103, v116, v92
	v_mul_f32_e32 v112, 0xbe903f40, v208
	v_fma_f32 v170, 0xbf75a155, v103, -v112
	s_delay_alu instid0(VALU_DEP_1) | instskip(SKIP_1) | instid1(VALU_DEP_1)
	v_add_f32_e32 v170, v170, v121
	v_fmamk_f32 v121, v218, 0x3ed4b147, v224
	v_add_f32_e32 v171, v80, v121
	v_mul_f32_e32 v121, 0xbf4178ce, v113
	s_delay_alu instid0(VALU_DEP_1) | instskip(NEXT) | instid1(VALU_DEP_1)
	v_fmamk_f32 v172, v82, 0xbf27a4f4, v121
	v_add_f32_e32 v171, v172, v171
	v_fma_f32 v172, 0x3ed4b147, v220, -v225
	s_delay_alu instid0(VALU_DEP_1) | instskip(NEXT) | instid1(VALU_DEP_1)
	v_add_f32_e32 v172, v81, v172
	v_dual_add_f32 v172, v207, v172 :: v_dual_mul_f32 v207, 0x3e903f40, v114
	s_delay_alu instid0(VALU_DEP_1) | instskip(NEXT) | instid1(VALU_DEP_1)
	v_fmamk_f32 v209, v83, 0xbf75a155, v207
	v_add_f32_e32 v171, v209, v171
	v_fma_f32 v209, 0xbf75a155, v97, -v214
	s_delay_alu instid0(VALU_DEP_1) | instskip(NEXT) | instid1(VALU_DEP_1)
	v_dual_add_f32 v172, v209, v172 :: v_dual_mul_f32 v209, 0x3f7d64f0, v119
	v_fmamk_f32 v211, v90, 0xbe11bafb, v209
	s_delay_alu instid0(VALU_DEP_1) | instskip(SKIP_1) | instid1(VALU_DEP_1)
	v_add_f32_e32 v171, v211, v171
	v_fma_f32 v211, 0xbe11bafb, v96, -v215
	v_add_f32_e32 v172, v211, v172
	v_mul_f32_e32 v211, 0x3f0a6770, v120
	s_delay_alu instid0(VALU_DEP_1) | instskip(NEXT) | instid1(VALU_DEP_1)
	v_fmamk_f32 v213, v91, 0x3f575c64, v211
	v_add_f32_e32 v171, v213, v171
	v_mul_f32_e32 v213, 0x3f0a6770, v208
	s_delay_alu instid0(VALU_DEP_1) | instskip(NEXT) | instid1(VALU_DEP_1)
	v_fma_f32 v228, 0x3f575c64, v103, -v213
	v_add_f32_e32 v172, v228, v172
	s_and_saveexec_b32 s1, s0
	s_cbranch_execz .LBB0_15
; %bb.14:
	v_dual_mul_f32 v228, 0xbe903f40, v222 :: v_dual_mul_f32 v231, 0xbe903f40, v219
	v_mul_f32_e32 v243, 0x3f68dda4, v210
	v_mul_f32_e32 v240, 0x3ed4b147, v103
	;; [unrolled: 1-line block ×3, first 2 shown]
	s_delay_alu instid0(VALU_DEP_4)
	v_fmamk_f32 v229, v220, 0xbf75a155, v228
	v_mul_f32_e32 v226, 0x3ed4b147, v220
	v_fma_f32 v233, 0xbf75a155, v218, -v231
	v_fma_f32 v228, 0xbf75a155, v220, -v228
	v_add_f32_e32 v235, v80, v217
	v_add_f32_e32 v229, v81, v229
	;; [unrolled: 1-line block ×3, first 2 shown]
	v_mul_f32_e32 v226, 0x3ed4b147, v218
	v_mul_f32_e32 v237, 0xbf75a155, v96
	v_dual_add_f32 v228, v81, v228 :: v_dual_mul_f32 v239, 0xbe903f40, v119
	v_mul_f32_e32 v241, 0x3f68dda4, v120
	s_delay_alu instid0(VALU_DEP_4) | instskip(SKIP_1) | instid1(VALU_DEP_2)
	v_sub_f32_e32 v224, v226, v224
	v_dual_mul_f32 v226, 0x3f575c64, v220 :: v_dual_add_f32 v225, v81, v225
	v_dual_fmac_f32 v231, 0xbf75a155, v218 :: v_dual_add_f32 v224, v80, v224
	s_delay_alu instid0(VALU_DEP_2) | instskip(NEXT) | instid1(VALU_DEP_2)
	v_add_f32_e32 v223, v223, v226
	v_dual_mul_f32 v226, 0x3f575c64, v218 :: v_dual_add_f32 v231, v80, v231
	s_delay_alu instid0(VALU_DEP_1) | instskip(NEXT) | instid1(VALU_DEP_3)
	v_dual_sub_f32 v221, v226, v221 :: v_dual_mul_f32 v226, 0xbf27a4f4, v220
	v_add_f32_e32 v223, v81, v223
	s_delay_alu instid0(VALU_DEP_2) | instskip(SKIP_1) | instid1(VALU_DEP_4)
	v_fmamk_f32 v227, v222, 0x3f4178ce, v226
	v_fmac_f32_e32 v226, 0xbf4178ce, v222
	v_dual_mul_f32 v222, 0xbf7d64f0, v222 :: v_dual_add_f32 v221, v80, v221
	s_delay_alu instid0(VALU_DEP_2) | instskip(NEXT) | instid1(VALU_DEP_2)
	v_add_f32_e32 v226, v81, v226
	v_fmamk_f32 v230, v220, 0xbe11bafb, v222
	v_fma_f32 v220, 0xbe11bafb, v220, -v222
	v_mul_f32_e32 v222, 0xbf4178ce, v219
	v_mul_f32_e32 v219, 0xbf7d64f0, v219
	s_delay_alu instid0(VALU_DEP_2) | instskip(SKIP_1) | instid1(VALU_DEP_3)
	v_fmamk_f32 v232, v218, 0xbf27a4f4, v222
	v_fma_f32 v222, 0xbf27a4f4, v218, -v222
	v_fma_f32 v234, 0xbe11bafb, v218, -v219
	v_dual_fmac_f32 v219, 0xbe11bafb, v218 :: v_dual_add_f32 v218, v81, v227
	s_delay_alu instid0(VALU_DEP_4) | instskip(NEXT) | instid1(VALU_DEP_4)
	v_add_f32_e32 v227, v80, v232
	v_add_f32_e32 v222, v80, v222
	v_add_f32_e32 v232, v80, v233
	s_delay_alu instid0(VALU_DEP_4) | instskip(SKIP_3) | instid1(VALU_DEP_4)
	v_dual_add_f32 v236, v80, v219 :: v_dual_mul_f32 v219, 0xbe11bafb, v104
	v_add_f32_e32 v230, v81, v230
	v_dual_add_f32 v233, v80, v234 :: v_dual_mul_f32 v238, 0x3f7d64f0, v113
	v_add_f32_e32 v220, v81, v220
	v_fmamk_f32 v80, v118, 0xbf7d64f0, v219
	v_fmac_f32_e32 v219, 0x3f7d64f0, v118
	s_delay_alu instid0(VALU_DEP_2) | instskip(SKIP_1) | instid1(VALU_DEP_3)
	v_add_f32_e32 v80, v80, v218
	v_mul_f32_e32 v218, 0x3f575c64, v97
	v_dual_add_f32 v234, v81, v216 :: v_dual_add_f32 v219, v219, v226
	v_fma_f32 v226, 0x3ed4b147, v91, -v241
	s_delay_alu instid0(VALU_DEP_3) | instskip(NEXT) | instid1(VALU_DEP_1)
	v_fmamk_f32 v81, v122, 0x3f0a6770, v218
	v_dual_add_f32 v87, v234, v87 :: v_dual_add_f32 v80, v81, v80
	v_fmamk_f32 v81, v210, 0x3e903f40, v237
	v_fmac_f32_e32 v237, 0xbe903f40, v210
	s_delay_alu instid0(VALU_DEP_3) | instskip(NEXT) | instid1(VALU_DEP_3)
	v_dual_mul_f32 v210, 0xbf0a6770, v210 :: v_dual_add_f32 v87, v87, v100
	v_dual_add_f32 v80, v81, v80 :: v_dual_fmamk_f32 v81, v82, 0xbe11bafb, v238
	s_delay_alu instid0(VALU_DEP_2) | instskip(NEXT) | instid1(VALU_DEP_2)
	v_add_f32_e32 v87, v87, v102
	v_add_f32_e32 v81, v81, v227
	v_mul_f32_e32 v227, 0xbf0a6770, v114
	s_delay_alu instid0(VALU_DEP_3) | instskip(NEXT) | instid1(VALU_DEP_2)
	v_add_f32_e32 v87, v87, v116
	v_fmamk_f32 v216, v83, 0x3f575c64, v227
	s_delay_alu instid0(VALU_DEP_2) | instskip(NEXT) | instid1(VALU_DEP_2)
	v_add_f32_e32 v87, v87, v92
	v_dual_add_f32 v81, v216, v81 :: v_dual_fmamk_f32 v216, v90, 0xbf75a155, v239
	s_delay_alu instid0(VALU_DEP_2) | instskip(NEXT) | instid1(VALU_DEP_2)
	v_add_f32_e32 v87, v87, v117
	v_add_f32_e32 v216, v216, v81
	v_fmamk_f32 v81, v208, 0xbf68dda4, v240
	s_delay_alu instid0(VALU_DEP_3) | instskip(NEXT) | instid1(VALU_DEP_2)
	v_add_f32_e32 v87, v87, v95
	v_dual_add_f32 v81, v81, v80 :: v_dual_fmamk_f32 v80, v91, 0x3ed4b147, v241
	s_delay_alu instid0(VALU_DEP_2) | instskip(NEXT) | instid1(VALU_DEP_2)
	v_dual_fmac_f32 v218, 0xbf0a6770, v122 :: v_dual_add_f32 v87, v87, v89
	v_add_f32_e32 v80, v80, v216
	v_fmamk_f32 v216, v104, 0x3f575c64, v242
	s_delay_alu instid0(VALU_DEP_3) | instskip(NEXT) | instid1(VALU_DEP_2)
	v_add_f32_e32 v218, v218, v219
	v_dual_add_f32 v216, v216, v229 :: v_dual_mul_f32 v229, 0xbf4178ce, v122
	s_delay_alu instid0(VALU_DEP_2) | instskip(SKIP_1) | instid1(VALU_DEP_3)
	v_add_f32_e32 v218, v237, v218
	v_mul_f32_e32 v122, 0x3f68dda4, v122
	v_fmamk_f32 v217, v97, 0xbf27a4f4, v229
	v_fma_f32 v89, 0xbf27a4f4, v97, -v229
	s_delay_alu instid0(VALU_DEP_2) | instskip(SKIP_2) | instid1(VALU_DEP_3)
	v_dual_add_f32 v216, v217, v216 :: v_dual_fmamk_f32 v217, v96, 0x3ed4b147, v243
	v_fmac_f32_e32 v240, 0x3f68dda4, v208
	v_mul_f32_e32 v244, 0x3f0a6770, v113
	v_add_f32_e32 v216, v217, v216
	s_delay_alu instid0(VALU_DEP_2) | instskip(NEXT) | instid1(VALU_DEP_1)
	v_fma_f32 v217, 0x3f575c64, v82, -v244
	v_add_f32_e32 v217, v217, v232
	v_fma_f32 v219, 0xbe11bafb, v82, -v238
	s_delay_alu instid0(VALU_DEP_1) | instskip(SKIP_2) | instid1(VALU_DEP_2)
	v_add_f32_e32 v219, v219, v222
	v_fma_f32 v222, 0x3f575c64, v83, -v227
	v_mul_f32_e32 v227, 0x3f68dda4, v114
	v_add_f32_e32 v219, v222, v219
	v_fma_f32 v222, 0xbf75a155, v90, -v239
	v_fma_f32 v92, 0x3f575c64, v104, -v242
	s_delay_alu instid0(VALU_DEP_2) | instskip(NEXT) | instid1(VALU_DEP_2)
	v_dual_add_f32 v222, v222, v219 :: v_dual_add_f32 v219, v240, v218
	v_add_f32_e32 v92, v92, v228
	v_add_f32_e32 v86, v235, v86
	s_delay_alu instid0(VALU_DEP_3)
	v_add_f32_e32 v218, v226, v222
	v_mul_f32_e32 v222, 0x3e903f40, v118
	v_fmamk_f32 v226, v97, 0x3ed4b147, v122
	v_add_f32_e32 v89, v89, v92
	v_fma_f32 v92, 0x3ed4b147, v96, -v243
	v_add_f32_e32 v86, v86, v98
	v_fmamk_f32 v118, v104, 0xbf75a155, v222
	s_delay_alu instid0(VALU_DEP_2) | instskip(NEXT) | instid1(VALU_DEP_2)
	v_dual_add_f32 v89, v92, v89 :: v_dual_add_f32 v86, v86, v99
	v_add_f32_e32 v118, v118, v230
	v_mul_f32_e32 v230, 0xbf0a6770, v119
	s_delay_alu instid0(VALU_DEP_3) | instskip(NEXT) | instid1(VALU_DEP_3)
	v_add_f32_e32 v86, v86, v101
	v_add_f32_e32 v118, v226, v118
	v_fmamk_f32 v226, v96, 0x3f575c64, v210
	s_delay_alu instid0(VALU_DEP_3) | instskip(NEXT) | instid1(VALU_DEP_2)
	v_add_f32_e32 v86, v86, v115
	v_add_f32_e32 v118, v226, v118
	v_mul_f32_e32 v226, 0x3e903f40, v113
	s_delay_alu instid0(VALU_DEP_3) | instskip(NEXT) | instid1(VALU_DEP_2)
	v_add_f32_e32 v86, v86, v93
	v_fma_f32 v113, 0xbf75a155, v82, -v226
	v_mul_f32_e32 v232, 0xbf4178ce, v114
	v_fma_f32 v114, 0x3ed4b147, v83, -v227
	s_delay_alu instid0(VALU_DEP_4) | instskip(NEXT) | instid1(VALU_DEP_4)
	v_dual_add_f32 v86, v86, v94 :: v_dual_fmac_f32 v227, 0x3ed4b147, v83
	v_add_f32_e32 v113, v113, v233
	s_delay_alu instid0(VALU_DEP_4) | instskip(SKIP_2) | instid1(VALU_DEP_4)
	v_fma_f32 v245, 0xbf27a4f4, v83, -v232
	v_mul_f32_e32 v248, 0xbf7d64f0, v120
	v_mul_f32_e32 v120, 0xbf4178ce, v120
	v_dual_fmac_f32 v232, 0xbf27a4f4, v83 :: v_dual_add_f32 v113, v114, v113
	s_delay_alu instid0(VALU_DEP_4) | instskip(SKIP_3) | instid1(VALU_DEP_3)
	v_add_f32_e32 v217, v245, v217
	v_mul_f32_e32 v245, 0x3f68dda4, v119
	v_fma_f32 v114, 0x3f575c64, v90, -v230
	v_dual_mul_f32 v119, 0xbf75a155, v97 :: v_dual_add_f32 v86, v86, v88
	v_fma_f32 v246, 0x3ed4b147, v90, -v245
	s_delay_alu instid0(VALU_DEP_3) | instskip(NEXT) | instid1(VALU_DEP_3)
	v_add_f32_e32 v113, v114, v113
	v_add_f32_e32 v119, v214, v119
	s_delay_alu instid0(VALU_DEP_3) | instskip(SKIP_2) | instid1(VALU_DEP_2)
	v_dual_add_f32 v246, v246, v217 :: v_dual_mul_f32 v247, 0xbf7d64f0, v208
	v_mul_f32_e32 v208, 0xbf4178ce, v208
	v_fmac_f32_e32 v245, 0x3ed4b147, v90
	v_fmamk_f32 v114, v103, 0xbf27a4f4, v208
	s_delay_alu instid0(VALU_DEP_1) | instskip(SKIP_1) | instid1(VALU_DEP_2)
	v_dual_fmamk_f32 v217, v103, 0xbe11bafb, v247 :: v_dual_add_f32 v114, v114, v118
	v_fma_f32 v118, 0xbf27a4f4, v91, -v120
	v_add_f32_e32 v217, v217, v216
	v_fma_f32 v216, 0xbe11bafb, v91, -v248
	s_delay_alu instid0(VALU_DEP_3) | instskip(SKIP_1) | instid1(VALU_DEP_3)
	v_dual_fmac_f32 v248, 0xbe11bafb, v91 :: v_dual_add_f32 v113, v118, v113
	v_mul_f32_e32 v118, 0xbf27a4f4, v104
	v_add_f32_e32 v216, v216, v246
	s_delay_alu instid0(VALU_DEP_2) | instskip(SKIP_1) | instid1(VALU_DEP_1)
	v_add_f32_e32 v118, v212, v118
	v_mul_f32_e32 v212, 0xbf75a155, v83
	v_dual_add_f32 v118, v118, v225 :: v_dual_sub_f32 v207, v212, v207
	s_delay_alu instid0(VALU_DEP_1) | instskip(SKIP_1) | instid1(VALU_DEP_1)
	v_add_f32_e32 v118, v119, v118
	v_mul_f32_e32 v119, 0xbf27a4f4, v82
	v_sub_f32_e32 v119, v119, v121
	v_mul_f32_e32 v121, 0xbe11bafb, v96
	v_fma_f32 v88, 0xbf75a155, v104, -v222
	s_delay_alu instid0(VALU_DEP_3) | instskip(NEXT) | instid1(VALU_DEP_2)
	v_add_f32_e32 v119, v119, v224
	v_dual_add_f32 v121, v215, v121 :: v_dual_add_f32 v88, v88, v220
	v_fma_f32 v93, 0x3ed4b147, v97, -v122
	s_delay_alu instid0(VALU_DEP_2) | instskip(SKIP_2) | instid1(VALU_DEP_2)
	v_dual_add_f32 v119, v207, v119 :: v_dual_add_f32 v118, v121, v118
	v_mul_f32_e32 v121, 0xbe11bafb, v90
	v_mul_f32_e32 v207, 0x3f575c64, v103
	v_sub_f32_e32 v121, v121, v209
	s_delay_alu instid0(VALU_DEP_2) | instskip(NEXT) | instid1(VALU_DEP_2)
	v_add_f32_e32 v207, v213, v207
	v_add_f32_e32 v121, v121, v119
	v_mul_f32_e32 v119, 0x3f575c64, v91
	s_delay_alu instid0(VALU_DEP_1) | instskip(NEXT) | instid1(VALU_DEP_4)
	v_sub_f32_e32 v209, v119, v211
	v_add_f32_e32 v119, v207, v118
	v_fmac_f32_e32 v230, 0x3f575c64, v90
	s_delay_alu instid0(VALU_DEP_3) | instskip(NEXT) | instid1(VALU_DEP_1)
	v_dual_add_f32 v118, v209, v121 :: v_dual_mul_f32 v121, 0x3ed4b147, v104
	v_add_f32_e32 v107, v107, v121
	v_mul_f32_e32 v121, 0xbe11bafb, v97
	v_fmac_f32_e32 v120, 0xbf27a4f4, v91
	s_delay_alu instid0(VALU_DEP_2) | instskip(NEXT) | instid1(VALU_DEP_1)
	v_dual_add_f32 v107, v107, v223 :: v_dual_add_f32 v110, v110, v121
	v_dual_add_f32 v107, v110, v107 :: v_dual_mul_f32 v110, 0x3ed4b147, v82
	s_delay_alu instid0(VALU_DEP_1) | instskip(NEXT) | instid1(VALU_DEP_1)
	v_sub_f32_e32 v105, v110, v105
	v_dual_add_f32 v105, v105, v221 :: v_dual_mul_f32 v110, 0xbf27a4f4, v96
	s_delay_alu instid0(VALU_DEP_1) | instskip(SKIP_4) | instid1(VALU_DEP_3)
	v_dual_add_f32 v110, v111, v110 :: v_dual_mul_f32 v111, 0xbe11bafb, v83
	v_add_f32_e32 v83, v87, v85
	v_fma_f32 v85, 0xbe11bafb, v103, -v247
	v_fmac_f32_e32 v226, 0xbf75a155, v82
	v_fma_f32 v87, 0x3f575c64, v96, -v210
	v_dual_sub_f32 v106, v111, v106 :: v_dual_add_f32 v85, v85, v89
	v_dual_add_f32 v88, v93, v88 :: v_dual_add_nc_u32 v89, 0x800, v173
	s_delay_alu instid0(VALU_DEP_2) | instskip(NEXT) | instid1(VALU_DEP_2)
	v_dual_add_f32 v105, v106, v105 :: v_dual_mul_f32 v106, 0xbf27a4f4, v90
	v_dual_fmac_f32 v244, 0x3f575c64, v82 :: v_dual_add_f32 v87, v87, v88
	v_fma_f32 v88, 0xbf27a4f4, v103, -v208
	s_delay_alu instid0(VALU_DEP_3) | instskip(NEXT) | instid1(VALU_DEP_3)
	v_sub_f32_e32 v106, v106, v108
	v_add_f32_e32 v82, v244, v231
	s_delay_alu instid0(VALU_DEP_3) | instskip(NEXT) | instid1(VALU_DEP_3)
	v_dual_add_f32 v92, v226, v236 :: v_dual_add_f32 v87, v88, v87
	v_dual_add_f32 v105, v106, v105 :: v_dual_mul_f32 v106, 0xbf75a155, v91
	v_mul_f32_e32 v108, 0xbf75a155, v103
	s_delay_alu instid0(VALU_DEP_4) | instskip(SKIP_1) | instid1(VALU_DEP_3)
	v_dual_add_f32 v107, v110, v107 :: v_dual_add_f32 v82, v232, v82
	v_add_nc_u32_e32 v91, 0x1400, v173
	v_dual_sub_f32 v109, v106, v109 :: v_dual_add_f32 v108, v112, v108
	v_add_f32_e32 v92, v227, v92
	v_add_nc_u32_e32 v88, 0x400, v173
	v_add_f32_e32 v90, v245, v82
	s_delay_alu instid0(VALU_DEP_4) | instskip(NEXT) | instid1(VALU_DEP_4)
	v_dual_add_f32 v105, v109, v105 :: v_dual_add_f32 v106, v108, v107
	v_add_f32_e32 v92, v230, v92
	v_add_f32_e32 v82, v86, v84
	s_delay_alu instid0(VALU_DEP_4) | instskip(SKIP_1) | instid1(VALU_DEP_4)
	v_add_f32_e32 v84, v248, v90
	v_add_nc_u32_e32 v90, 0x1000, v173
	v_add_f32_e32 v86, v120, v92
	ds_store_2addr_b64 v173, v[82:83], v[105:106] offset0:44 offset1:128
	ds_store_2addr_b64 v88, v[118:119], v[113:114] offset0:84 offset1:168
	;; [unrolled: 1-line block ×5, first 2 shown]
	ds_store_b64 v173, v[169:170] offset:7072
.LBB0_15:
	s_wait_alu 0xfffe
	s_or_b32 exec_lo, exec_lo, s1
	global_wb scope:SCOPE_SE
	s_wait_dscnt 0x0
	s_barrier_signal -1
	s_barrier_wait -1
	global_inv scope:SCOPE_SE
	global_load_b64 v[84:85], v[124:125], off offset:7392
	s_add_nc_u64 s[2:3], s[16:17], 0x1ce0
	s_clause 0xe
	global_load_b64 v[88:89], v173, s[2:3] offset:352
	global_load_b64 v[90:91], v173, s[2:3] offset:3696
	global_load_b64 v[92:93], v173, s[2:3] offset:4048
	global_load_b64 v[94:95], v173, s[2:3] offset:704
	global_load_b64 v[96:97], v173, s[2:3] offset:1056
	global_load_b64 v[98:99], v173, s[2:3] offset:4400
	global_load_b64 v[100:101], v173, s[2:3] offset:4752
	global_load_b64 v[102:103], v173, s[2:3] offset:1408
	global_load_b64 v[104:105], v173, s[2:3] offset:1760
	global_load_b64 v[106:107], v173, s[2:3] offset:5104
	global_load_b64 v[108:109], v173, s[2:3] offset:5456
	global_load_b64 v[110:111], v173, s[2:3] offset:2112
	global_load_b64 v[112:113], v173, s[2:3] offset:2464
	global_load_b64 v[114:115], v173, s[2:3] offset:5808
	global_load_b64 v[116:117], v173, s[2:3] offset:6160
	ds_load_2addr_b64 v[80:83], v173 offset1:44
	s_wait_loadcnt_dscnt 0xe00
	v_mul_f32_e32 v119, v82, v89
	s_delay_alu instid0(VALU_DEP_1) | instskip(SKIP_2) | instid1(VALU_DEP_2)
	v_fmac_f32_e32 v119, v83, v88
	v_mul_f32_e32 v87, v81, v85
	v_mul_f32_e32 v86, v80, v85
	v_fma_f32 v85, v80, v84, -v87
	s_delay_alu instid0(VALU_DEP_2)
	v_dual_fmac_f32 v86, v81, v84 :: v_dual_mul_f32 v81, v83, v89
	v_add_nc_u32_e32 v80, 0x800, v173
	ds_store_b64 v173, v[85:86]
	v_fma_f32 v118, v82, v88, -v81
	ds_load_2addr_b64 v[84:87], v80 offset0:206 offset1:250
	global_load_b64 v[88:89], v173, s[2:3] offset:3168
	s_wait_loadcnt_dscnt 0xe00
	v_mul_f32_e32 v81, v85, v91
	s_wait_loadcnt 0xd
	v_dual_mul_f32 v121, v84, v91 :: v_dual_mul_f32 v82, v87, v93
	v_mul_f32_e32 v208, v86, v93
	s_delay_alu instid0(VALU_DEP_3) | instskip(NEXT) | instid1(VALU_DEP_3)
	v_fma_f32 v120, v84, v90, -v81
	v_fmac_f32_e32 v121, v85, v90
	s_delay_alu instid0(VALU_DEP_4)
	v_fma_f32 v207, v86, v92, -v82
	ds_load_2addr_b64 v[81:84], v173 offset0:88 offset1:132
	s_wait_loadcnt_dscnt 0xc00
	v_dual_fmac_f32 v208, v87, v92 :: v_dual_mul_f32 v85, v82, v95
	s_wait_loadcnt 0xb
	v_dual_mul_f32 v86, v84, v97 :: v_dual_mul_f32 v93, v81, v95
	v_mul_f32_e32 v95, v83, v97
	s_delay_alu instid0(VALU_DEP_3) | instskip(SKIP_1) | instid1(VALU_DEP_4)
	v_fma_f32 v92, v81, v94, -v85
	v_add_nc_u32_e32 v81, 0x1000, v173
	v_fmac_f32_e32 v93, v82, v94
	v_fma_f32 v94, v83, v96, -v86
	v_fmac_f32_e32 v95, v84, v96
	ds_load_2addr_b64 v[82:85], v81 offset0:38 offset1:82
	s_wait_loadcnt_dscnt 0xa00
	v_mul_f32_e32 v86, v83, v99
	v_mul_f32_e32 v97, v82, v99
	s_wait_loadcnt 0x9
	v_mul_f32_e32 v99, v84, v101
	s_delay_alu instid0(VALU_DEP_3) | instskip(NEXT) | instid1(VALU_DEP_3)
	v_fma_f32 v96, v82, v98, -v86
	v_dual_mul_f32 v82, v85, v101 :: v_dual_fmac_f32 v97, v83, v98
	s_delay_alu instid0(VALU_DEP_3) | instskip(NEXT) | instid1(VALU_DEP_2)
	v_fmac_f32_e32 v99, v85, v100
	v_fma_f32 v98, v84, v100, -v82
	ds_load_2addr_b64 v[82:85], v173 offset0:176 offset1:220
	s_wait_loadcnt_dscnt 0x800
	v_mul_f32_e32 v86, v83, v103
	v_mul_f32_e32 v101, v82, v103
	s_wait_loadcnt 0x7
	v_mul_f32_e32 v103, v84, v105
	s_delay_alu instid0(VALU_DEP_3) | instskip(NEXT) | instid1(VALU_DEP_3)
	v_fma_f32 v100, v82, v102, -v86
	v_dual_mul_f32 v82, v85, v105 :: v_dual_fmac_f32 v101, v83, v102
	s_delay_alu instid0(VALU_DEP_3) | instskip(NEXT) | instid1(VALU_DEP_2)
	v_fmac_f32_e32 v103, v85, v104
	v_fma_f32 v102, v84, v104, -v82
	;; [unrolled: 12-line block ×4, first 2 shown]
	v_add_nc_u32_e32 v82, 0x1400, v173
	ds_load_2addr_b64 v[83:86], v82 offset0:86 offset1:130
	s_clause 0x2
	global_load_b64 v[112:113], v173, s[2:3] offset:6512
	global_load_b64 v[209:210], v173, s[2:3] offset:6864
	;; [unrolled: 1-line block ×3, first 2 shown]
	s_wait_loadcnt_dscnt 0x500
	v_mul_f32_e32 v87, v84, v115
	s_wait_loadcnt 0x4
	v_dual_mul_f32 v212, v83, v115 :: v_dual_mul_f32 v115, v85, v117
	s_delay_alu instid0(VALU_DEP_2) | instskip(NEXT) | instid1(VALU_DEP_2)
	v_fma_f32 v211, v83, v114, -v87
	v_dual_mul_f32 v83, v86, v117 :: v_dual_fmac_f32 v212, v84, v114
	s_delay_alu instid0(VALU_DEP_3) | instskip(NEXT) | instid1(VALU_DEP_2)
	v_fmac_f32_e32 v115, v86, v116
	v_fma_f32 v114, v85, v116, -v83
	ds_load_2addr_b64 v[83:86], v80 offset0:96 offset1:140
	s_wait_loadcnt_dscnt 0x300
	v_mul_f32_e32 v214, v85, v89
	s_wait_loadcnt 0x0
	s_delay_alu instid0(VALU_DEP_1) | instskip(SKIP_2) | instid1(VALU_DEP_3)
	v_dual_fmac_f32 v214, v86, v88 :: v_dual_mul_f32 v87, v84, v91
	v_mul_f32_e32 v117, v83, v91
	v_add_nc_u32_e32 v91, 0x1800, v173
	v_fma_f32 v116, v83, v90, -v87
	v_mul_f32_e32 v83, v86, v89
	s_delay_alu instid0(VALU_DEP_4) | instskip(NEXT) | instid1(VALU_DEP_2)
	v_fmac_f32_e32 v117, v84, v90
	v_fma_f32 v213, v85, v88, -v83
	ds_load_2addr_b64 v[83:86], v91 offset0:46 offset1:90
	s_wait_dscnt 0x0
	v_mul_f32_e32 v87, v84, v113
	v_mul_f32_e32 v88, v83, v113
	s_delay_alu instid0(VALU_DEP_2) | instskip(NEXT) | instid1(VALU_DEP_2)
	v_fma_f32 v87, v83, v112, -v87
	v_dual_mul_f32 v83, v86, v210 :: v_dual_fmac_f32 v88, v84, v112
	v_mul_f32_e32 v84, v85, v210
	s_delay_alu instid0(VALU_DEP_2) | instskip(SKIP_1) | instid1(VALU_DEP_3)
	v_fma_f32 v83, v85, v209, -v83
	v_add_nc_u32_e32 v85, 0xc00, v173
	v_fmac_f32_e32 v84, v86, v209
	ds_store_2addr_b64 v85, v[207:208], v[96:97] offset0:122 offset1:166
	v_add_nc_u32_e32 v85, 0x400, v173
	ds_store_2addr_b64 v173, v[118:119], v[92:93] offset0:44 offset1:88
	ds_store_2addr_b64 v173, v[94:95], v[100:101] offset0:132 offset1:176
	;; [unrolled: 1-line block ×8, first 2 shown]
	ds_store_b64 v173, v[83:84] offset:6864
	s_and_saveexec_b32 s1, vcc_lo
	s_cbranch_execz .LBB0_17
; %bb.16:
	s_wait_alu 0xfffe
	v_add_co_u32 v83, s2, s2, v173
	s_wait_alu 0xf1ff
	v_add_co_ci_u32_e64 v84, null, s3, 0, s2
	s_clause 0x1
	global_load_b64 v[85:86], v[83:84], off offset:3520
	global_load_b64 v[83:84], v[83:84], off offset:7216
	ds_load_b64 v[87:88], v173 offset:3520
	ds_load_b64 v[89:90], v173 offset:7216
	s_wait_loadcnt_dscnt 0x101
	v_mul_f32_e32 v92, v88, v86
	s_wait_loadcnt_dscnt 0x0
	v_dual_mul_f32 v93, v87, v86 :: v_dual_mul_f32 v94, v90, v84
	v_mul_f32_e32 v86, v89, v84
	s_delay_alu instid0(VALU_DEP_3) | instskip(NEXT) | instid1(VALU_DEP_3)
	v_fma_f32 v92, v87, v85, -v92
	v_fmac_f32_e32 v93, v88, v85
	s_delay_alu instid0(VALU_DEP_4) | instskip(NEXT) | instid1(VALU_DEP_4)
	v_fma_f32 v85, v89, v83, -v94
	v_fmac_f32_e32 v86, v90, v83
	ds_store_b64 v173, v[92:93] offset:3520
	ds_store_b64 v173, v[85:86] offset:7216
.LBB0_17:
	s_wait_alu 0xfffe
	s_or_b32 exec_lo, exec_lo, s1
	global_wb scope:SCOPE_SE
	s_wait_dscnt 0x0
	s_barrier_signal -1
	s_barrier_wait -1
	global_inv scope:SCOPE_SE
	ds_load_2addr_b64 v[107:110], v173 offset1:44
	ds_load_2addr_b64 v[119:122], v80 offset0:206 offset1:250
	ds_load_2addr_b64 v[99:102], v173 offset0:88 offset1:132
	;; [unrolled: 1-line block ×9, first 2 shown]
	v_lshlrev_b32_e32 v207, 3, v194
	v_lshlrev_b32_e32 v195, 3, v195
	;; [unrolled: 1-line block ×3, first 2 shown]
	s_and_saveexec_b32 s1, vcc_lo
	s_cbranch_execz .LBB0_19
; %bb.18:
	ds_load_b64 v[171:172], v173 offset:3520
	ds_load_b64 v[169:170], v173 offset:7216
.LBB0_19:
	s_wait_alu 0xfffe
	s_or_b32 exec_lo, exec_lo, s1
	s_wait_dscnt 0x8
	v_dual_sub_f32 v121, v109, v121 :: v_dual_sub_f32 v122, v110, v122
	s_wait_dscnt 0x2
	v_dual_sub_f32 v218, v89, v105 :: v_dual_sub_f32 v219, v90, v106
	;; [unrolled: 2-line block ×3, first 2 shown]
	v_dual_sub_f32 v210, v107, v119 :: v_dual_sub_f32 v211, v108, v120
	v_dual_sub_f32 v214, v99, v115 :: v_dual_sub_f32 v215, v100, v116
	v_fma_f32 v119, v109, 2.0, -v121
	v_sub_f32_e32 v109, v101, v117
	v_fma_f32 v120, v110, 2.0, -v122
	v_dual_sub_f32 v110, v102, v118 :: v_dual_sub_f32 v103, v87, v103
	v_sub_f32_e32 v104, v88, v104
	v_fma_f32 v216, v89, 2.0, -v218
	v_fma_f32 v89, v83, 2.0, -v91
	v_dual_sub_f32 v82, v171, v169 :: v_dual_sub_f32 v83, v172, v170
	v_dual_sub_f32 v115, v95, v111 :: v_dual_sub_f32 v116, v96, v112
	v_fma_f32 v208, v107, 2.0, -v210
	v_fma_f32 v209, v108, 2.0, -v211
	;; [unrolled: 1-line block ×5, first 2 shown]
	v_dual_sub_f32 v99, v97, v113 :: v_dual_sub_f32 v100, v98, v114
	v_fma_f32 v108, v102, 2.0, -v110
	v_fma_f32 v101, v87, 2.0, -v103
	;; [unrolled: 1-line block ×3, first 2 shown]
	v_dual_sub_f32 v87, v85, v93 :: v_dual_sub_f32 v88, v86, v94
	v_fma_f32 v80, v171, 2.0, -v82
	v_fma_f32 v81, v172, 2.0, -v83
	;; [unrolled: 1-line block ×10, first 2 shown]
	global_wb scope:SCOPE_SE
	s_barrier_signal -1
	s_barrier_wait -1
	global_inv scope:SCOPE_SE
	ds_store_b128 v123, v[208:211]
	ds_store_b128 v176, v[119:122]
	;; [unrolled: 1-line block ×10, first 2 shown]
	s_and_saveexec_b32 s1, vcc_lo
	s_cbranch_execz .LBB0_21
; %bb.20:
	ds_store_b128 v182, v[80:83]
.LBB0_21:
	s_wait_alu 0xfffe
	s_or_b32 exec_lo, exec_lo, s1
	v_add_nc_u32_e32 v85, 0x1000, v173
	v_add_nc_u32_e32 v84, 0x800, v173
	;; [unrolled: 1-line block ×4, first 2 shown]
	global_wb scope:SCOPE_SE
	s_wait_dscnt 0x0
	s_barrier_signal -1
	s_barrier_wait -1
	global_inv scope:SCOPE_SE
	ds_load_2addr_b64 v[100:103], v173 offset1:44
	ds_load_2addr_b64 v[116:119], v84 offset0:206 offset1:250
	ds_load_2addr_b64 v[92:95], v173 offset0:88 offset1:132
	;; [unrolled: 1-line block ×9, first 2 shown]
	s_and_saveexec_b32 s1, vcc_lo
	s_cbranch_execz .LBB0_23
; %bb.22:
	ds_load_b64 v[80:81], v173 offset:3520
	ds_load_b64 v[82:83], v173 offset:7216
.LBB0_23:
	s_wait_alu 0xfffe
	s_or_b32 exec_lo, exec_lo, s1
	s_wait_dscnt 0x8
	v_mul_f32_e32 v171, v168, v119
	v_mul_f32_e32 v170, v168, v116
	;; [unrolled: 1-line block ×3, first 2 shown]
	s_wait_dscnt 0x0
	v_mul_f32_e32 v181, v168, v83
	global_wb scope:SCOPE_SE
	v_dual_fmac_f32 v171, v167, v118 :: v_dual_mul_f32 v118, v168, v111
	v_mul_f32_e32 v169, v168, v117
	s_barrier_signal -1
	s_barrier_wait -1
	global_inv scope:SCOPE_SE
	v_fmac_f32_e32 v118, v167, v110
	v_fmac_f32_e32 v169, v167, v116
	v_fma_f32 v116, v167, v117, -v170
	v_fma_f32 v119, v167, v119, -v172
	v_mul_f32_e32 v172, v168, v123
	v_mul_f32_e32 v117, v168, v109
	v_dual_mul_f32 v170, v168, v108 :: v_dual_fmac_f32 v181, v167, v82
	s_delay_alu instid0(VALU_DEP_3) | instskip(NEXT) | instid1(VALU_DEP_3)
	v_fmac_f32_e32 v172, v167, v122
	v_dual_fmac_f32 v117, v167, v108 :: v_dual_mul_f32 v108, v168, v110
	v_mul_f32_e32 v110, v168, v120
	v_mul_f32_e32 v179, v168, v107
	s_delay_alu instid0(VALU_DEP_3) | instskip(SKIP_1) | instid1(VALU_DEP_3)
	v_fma_f32 v111, v167, v111, -v108
	v_mul_f32_e32 v108, v168, v122
	v_fmac_f32_e32 v179, v167, v106
	s_delay_alu instid0(VALU_DEP_3) | instskip(NEXT) | instid1(VALU_DEP_3)
	v_sub_f32_e32 v111, v95, v111
	v_fma_f32 v122, v167, v123, -v108
	v_mul_f32_e32 v123, v168, v115
	s_delay_alu instid0(VALU_DEP_3) | instskip(NEXT) | instid1(VALU_DEP_2)
	v_fma_f32 v95, v95, 2.0, -v111
	v_fmac_f32_e32 v123, v167, v114
	v_fma_f32 v109, v167, v109, -v170
	v_mul_f32_e32 v170, v168, v121
	s_delay_alu instid0(VALU_DEP_2) | instskip(NEXT) | instid1(VALU_DEP_2)
	v_dual_mul_f32 v108, v168, v112 :: v_dual_sub_f32 v109, v93, v109
	v_fmac_f32_e32 v170, v167, v120
	v_fma_f32 v120, v167, v121, -v110
	v_mul_f32_e32 v110, v168, v114
	v_mul_f32_e32 v176, v168, v105
	v_fma_f32 v177, v167, v113, -v108
	v_mul_f32_e32 v108, v168, v104
	v_mul_f32_e32 v121, v168, v113
	v_fma_f32 v178, v167, v115, -v110
	v_sub_f32_e32 v113, v97, v120
	v_fmac_f32_e32 v176, v167, v104
	v_mul_f32_e32 v104, v168, v106
	v_sub_f32_e32 v115, v99, v122
	v_fma_f32 v182, v167, v105, -v108
	v_dual_mul_f32 v105, v168, v82 :: v_dual_sub_f32 v106, v102, v171
	v_dual_fmac_f32 v121, v167, v112 :: v_dual_sub_f32 v108, v92, v117
	v_sub_f32_e32 v117, v89, v177
	v_fma_f32 v168, v167, v107, -v104
	v_sub_f32_e32 v104, v100, v169
	v_fma_f32 v83, v167, v83, -v105
	v_sub_f32_e32 v105, v101, v116
	v_sub_f32_e32 v107, v103, v119
	;; [unrolled: 1-line block ×5, first 2 shown]
	v_fma_f32 v100, v100, 2.0, -v104
	v_fma_f32 v101, v101, 2.0, -v105
	v_sub_f32_e32 v114, v98, v172
	v_dual_sub_f32 v116, v88, v121 :: v_dual_sub_f32 v83, v81, v83
	v_sub_f32_e32 v118, v90, v123
	v_dual_sub_f32 v120, v84, v176 :: v_dual_sub_f32 v121, v85, v182
	v_dual_sub_f32 v122, v86, v179 :: v_dual_sub_f32 v123, v87, v168
	v_sub_f32_e32 v82, v80, v181
	v_fma_f32 v102, v102, 2.0, -v106
	v_fma_f32 v103, v103, 2.0, -v107
	;; [unrolled: 1-line block ×17, first 2 shown]
	ds_store_2addr_b64 v193, v[100:101], v[104:105] offset1:2
	ds_store_2addr_b64 v192, v[102:103], v[106:107] offset1:2
	;; [unrolled: 1-line block ×10, first 2 shown]
	s_and_saveexec_b32 s1, vcc_lo
	s_cbranch_execz .LBB0_25
; %bb.24:
	v_and_or_b32 v84, 0x3fc, v180, v175
	v_fma_f32 v81, v81, 2.0, -v83
	v_fma_f32 v80, v80, 2.0, -v82
	s_delay_alu instid0(VALU_DEP_3)
	v_lshlrev_b32_e32 v84, 3, v84
	ds_store_2addr_b64 v84, v[80:81], v[82:83] offset1:2
.LBB0_25:
	s_wait_alu 0xfffe
	s_or_b32 exec_lo, exec_lo, s1
	v_add_nc_u32_e32 v85, 0x800, v173
	v_add_nc_u32_e32 v84, 0x1000, v173
	global_wb scope:SCOPE_SE
	s_wait_dscnt 0x0
	s_barrier_signal -1
	s_barrier_wait -1
	global_inv scope:SCOPE_SE
	ds_load_2addr_b64 v[86:89], v85 offset0:8 offset1:52
	ds_load_2addr_b64 v[90:93], v84 offset0:104 offset1:148
	;; [unrolled: 1-line block ×3, first 2 shown]
	ds_load_2addr_b64 v[98:101], v173 offset1:44
	ds_load_2addr_b64 v[102:105], v173 offset0:88 offset1:132
	s_wait_dscnt 0x4
	v_dual_mul_f32 v171, v1, v88 :: v_dual_add_nc_u32 v122, 0x1800, v173
	s_wait_dscnt 0x3
	v_mul_f32_e32 v175, v3, v90
	v_mul_f32_e32 v172, v3, v91
	ds_load_2addr_b64 v[106:109], v173 offset0:176 offset1:220
	ds_load_b64 v[80:81], v173 offset:7040
	ds_load_2addr_b64 v[110:113], v84 offset0:192 offset1:236
	ds_load_2addr_b64 v[114:117], v85 offset0:184 offset1:228
	;; [unrolled: 1-line block ×4, first 2 shown]
	v_mul_f32_e32 v123, v1, v89
	s_wait_dscnt 0x8
	v_dual_mul_f32 v177, v1, v94 :: v_dual_mul_f32 v178, v3, v93
	v_dual_mul_f32 v176, v1, v95 :: v_dual_mul_f32 v179, v3, v92
	s_delay_alu instid0(VALU_DEP_3) | instskip(SKIP_1) | instid1(VALU_DEP_4)
	v_dual_fmac_f32 v172, v2, v90 :: v_dual_fmac_f32 v123, v0, v88
	v_fma_f32 v88, v0, v89, -v171
	v_fmac_f32_e32 v178, v2, v92
	v_fma_f32 v89, v2, v91, -v175
	v_fmac_f32_e32 v176, v0, v94
	v_fma_f32 v90, v0, v95, -v177
	v_mul_f32_e32 v95, v1, v97
	v_mul_f32_e32 v91, v1, v96
	v_fma_f32 v92, v2, v93, -v179
	global_wb scope:SCOPE_SE
	s_wait_dscnt 0x0
	v_mul_f32_e32 v171, v3, v111
	v_mul_f32_e32 v93, v3, v110
	v_fmac_f32_e32 v95, v0, v96
	v_fma_f32 v96, v0, v97, -v91
	v_mul_f32_e32 v175, v1, v115
	v_dual_fmac_f32 v171, v2, v110 :: v_dual_mul_f32 v110, v3, v113
	v_mul_f32_e32 v91, v1, v114
	s_barrier_signal -1
	s_barrier_wait -1
	global_inv scope:SCOPE_SE
	v_fmac_f32_e32 v110, v2, v112
	v_fma_f32 v97, v2, v111, -v93
	v_mul_f32_e32 v93, v3, v112
	v_fma_f32 v111, v0, v115, -v91
	v_dual_mul_f32 v91, v1, v116 :: v_dual_sub_f32 v94, v176, v178
	s_delay_alu instid0(VALU_DEP_3) | instskip(SKIP_2) | instid1(VALU_DEP_4)
	v_fma_f32 v112, v2, v113, -v93
	v_mul_f32_e32 v113, v3, v119
	v_mul_f32_e32 v93, v3, v118
	v_fma_f32 v115, v0, v117, -v91
	v_mul_f32_e32 v91, v1, v167
	s_delay_alu instid0(VALU_DEP_4) | instskip(SKIP_3) | instid1(VALU_DEP_4)
	v_dual_fmac_f32 v113, v2, v118 :: v_dual_mul_f32 v118, v3, v121
	v_dual_fmac_f32 v175, v0, v114 :: v_dual_mul_f32 v114, v1, v117
	v_fma_f32 v117, v2, v119, -v93
	v_mul_f32_e32 v93, v3, v120
	v_fmac_f32_e32 v118, v2, v120
	s_delay_alu instid0(VALU_DEP_4) | instskip(SKIP_1) | instid1(VALU_DEP_4)
	v_fmac_f32_e32 v114, v0, v116
	v_mul_f32_e32 v116, v1, v168
	v_fma_f32 v120, v2, v121, -v93
	v_mul_f32_e32 v121, v3, v81
	v_mul_f32_e32 v3, v3, v80
	s_delay_alu instid0(VALU_DEP_4) | instskip(SKIP_3) | instid1(VALU_DEP_3)
	v_dual_sub_f32 v93, v90, v92 :: v_dual_fmac_f32 v116, v0, v167
	v_mul_f32_e32 v167, v1, v170
	v_mul_f32_e32 v1, v1, v169
	v_fmac_f32_e32 v121, v2, v80
	v_fmac_f32_e32 v167, v0, v169
	v_fma_f32 v169, v2, v81, -v3
	v_add_f32_e32 v3, v88, v89
	v_dual_sub_f32 v81, v88, v89 :: v_dual_add_f32 v88, v99, v88
	v_fma_f32 v119, v0, v168, -v91
	v_fma_f32 v168, v0, v170, -v1
	v_dual_add_f32 v1, v98, v123 :: v_dual_add_f32 v0, v123, v172
	s_delay_alu instid0(VALU_DEP_1)
	v_add_f32_e32 v2, v1, v172
	v_fma_f32 v1, -0.5, v3, v99
	v_add_f32_e32 v3, v88, v89
	v_add_f32_e32 v88, v176, v178
	;; [unrolled: 1-line block ×3, first 2 shown]
	v_fma_f32 v0, -0.5, v0, v98
	v_sub_f32_e32 v99, v96, v97
	v_sub_f32_e32 v91, v123, v172
	v_fma_f32 v100, -0.5, v88, v100
	v_add_f32_e32 v88, v89, v178
	v_add_f32_e32 v89, v101, v90
	v_fmamk_f32 v80, v81, 0xbf5db3d7, v0
	v_dual_fmac_f32 v0, 0x3f5db3d7, v81 :: v_dual_fmamk_f32 v81, v91, 0x3f5db3d7, v1
	v_fmac_f32_e32 v1, 0xbf5db3d7, v91
	v_add_f32_e32 v91, v90, v92
	v_dual_add_f32 v89, v89, v92 :: v_dual_add_f32 v92, v95, v171
	v_fmamk_f32 v90, v93, 0xbf5db3d7, v100
	s_delay_alu instid0(VALU_DEP_3) | instskip(SKIP_1) | instid1(VALU_DEP_4)
	v_dual_fmac_f32 v100, 0x3f5db3d7, v93 :: v_dual_fmac_f32 v101, -0.5, v91
	v_add_f32_e32 v93, v102, v95
	v_fma_f32 v92, -0.5, v92, v102
	v_add_f32_e32 v98, v96, v97
	s_delay_alu instid0(VALU_DEP_4) | instskip(NEXT) | instid1(VALU_DEP_3)
	v_dual_add_f32 v102, v103, v96 :: v_dual_fmamk_f32 v91, v94, 0x3f5db3d7, v101
	v_dual_fmac_f32 v101, 0xbf5db3d7, v94 :: v_dual_fmamk_f32 v96, v99, 0xbf5db3d7, v92
	v_dual_fmac_f32 v92, 0x3f5db3d7, v99 :: v_dual_add_f32 v99, v175, v110
	v_add_f32_e32 v94, v93, v171
	v_fma_f32 v93, -0.5, v98, v103
	v_dual_sub_f32 v98, v95, v171 :: v_dual_add_f32 v95, v102, v97
	v_dual_add_f32 v102, v104, v175 :: v_dual_add_f32 v103, v111, v112
	v_fma_f32 v104, -0.5, v99, v104
	v_sub_f32_e32 v99, v111, v112
	v_add_f32_e32 v111, v105, v111
	v_fmamk_f32 v97, v98, 0x3f5db3d7, v93
	v_fmac_f32_e32 v93, 0xbf5db3d7, v98
	v_add_f32_e32 v98, v102, v110
	v_fmamk_f32 v102, v99, 0xbf5db3d7, v104
	v_dual_fmac_f32 v104, 0x3f5db3d7, v99 :: v_dual_add_f32 v99, v111, v112
	v_add_f32_e32 v111, v114, v113
	v_dual_fmac_f32 v105, -0.5, v103 :: v_dual_sub_f32 v110, v175, v110
	v_dual_add_f32 v112, v106, v114 :: v_dual_add_f32 v123, v115, v117
	s_delay_alu instid0(VALU_DEP_3)
	v_fma_f32 v106, -0.5, v111, v106
	v_sub_f32_e32 v111, v115, v117
	v_add_f32_e32 v115, v107, v115
	v_fmamk_f32 v103, v110, 0x3f5db3d7, v105
	v_dual_fmac_f32 v105, 0xbf5db3d7, v110 :: v_dual_add_f32 v110, v112, v113
	v_fma_f32 v107, -0.5, v123, v107
	v_sub_f32_e32 v114, v114, v113
	v_fmamk_f32 v112, v111, 0xbf5db3d7, v106
	v_dual_fmac_f32 v106, 0x3f5db3d7, v111 :: v_dual_add_f32 v111, v115, v117
	v_add_f32_e32 v115, v116, v118
	v_add_f32_e32 v117, v108, v116
	;; [unrolled: 1-line block ×3, first 2 shown]
	v_fmamk_f32 v113, v114, 0x3f5db3d7, v107
	v_fmac_f32_e32 v107, 0xbf5db3d7, v114
	v_fma_f32 v108, -0.5, v115, v108
	v_dual_sub_f32 v115, v119, v120 :: v_dual_add_f32 v114, v117, v118
	v_add_f32_e32 v117, v109, v119
	v_dual_fmac_f32 v109, -0.5, v123 :: v_dual_sub_f32 v118, v116, v118
	s_delay_alu instid0(VALU_DEP_3) | instskip(NEXT) | instid1(VALU_DEP_3)
	v_fmamk_f32 v116, v115, 0xbf5db3d7, v108
	v_dual_fmac_f32 v108, 0x3f5db3d7, v115 :: v_dual_add_f32 v115, v117, v120
	v_add_f32_e32 v119, v167, v121
	s_delay_alu instid0(VALU_DEP_4) | instskip(SKIP_2) | instid1(VALU_DEP_4)
	v_fmamk_f32 v117, v118, 0x3f5db3d7, v109
	v_dual_fmac_f32 v109, 0xbf5db3d7, v118 :: v_dual_add_f32 v118, v168, v169
	v_add_f32_e32 v120, v86, v167
	v_fma_f32 v86, -0.5, v119, v86
	v_sub_f32_e32 v119, v168, v169
	v_add_f32_e32 v123, v87, v168
	v_fmac_f32_e32 v87, -0.5, v118
	v_sub_f32_e32 v167, v167, v121
	v_add_f32_e32 v118, v120, v121
	v_fmamk_f32 v120, v119, 0xbf5db3d7, v86
	v_dual_fmac_f32 v86, 0x3f5db3d7, v119 :: v_dual_add_f32 v119, v123, v169
	s_delay_alu instid0(VALU_DEP_4)
	v_fmamk_f32 v121, v167, 0x3f5db3d7, v87
	v_fmac_f32_e32 v87, 0xbf5db3d7, v167
	ds_store_2addr_b64 v203, v[2:3], v[80:81] offset1:4
	ds_store_b64 v203, v[0:1] offset:64
	ds_store_2addr_b64 v202, v[88:89], v[90:91] offset1:4
	ds_store_b64 v202, v[100:101] offset:64
	;; [unrolled: 2-line block ×7, first 2 shown]
	global_wb scope:SCOPE_SE
	s_wait_dscnt 0x0
	s_barrier_signal -1
	s_barrier_wait -1
	global_inv scope:SCOPE_SE
	ds_load_2addr_b64 v[86:89], v173 offset0:88 offset1:132
	ds_load_2addr_b64 v[0:3], v85 offset0:8 offset1:52
	;; [unrolled: 1-line block ×4, first 2 shown]
	ds_load_2addr_b64 v[98:101], v173 offset1:44
	ds_load_2addr_b64 v[102:105], v84 offset0:104 offset1:148
	ds_load_2addr_b64 v[106:109], v122 offset0:24 offset1:68
	;; [unrolled: 1-line block ×5, first 2 shown]
	ds_load_b64 v[80:81], v173 offset:7040
	global_wb scope:SCOPE_SE
	s_wait_dscnt 0x0
	s_barrier_signal -1
	s_barrier_wait -1
	global_inv scope:SCOPE_SE
	v_mul_f32_e32 v122, v37, v89
	v_mul_f32_e32 v37, v37, v88
	;; [unrolled: 1-line block ×4, first 2 shown]
	s_delay_alu instid0(VALU_DEP_4) | instskip(SKIP_4) | instid1(VALU_DEP_4)
	v_fmac_f32_e32 v122, v36, v88
	v_mul_f32_e32 v88, v39, v1
	v_mul_f32_e32 v39, v39, v0
	v_dual_fmac_f32 v123, v32, v92 :: v_dual_mul_f32 v92, v17, v119
	v_fma_f32 v36, v36, v89, -v37
	v_fmac_f32_e32 v88, v38, v0
	s_delay_alu instid0(VALU_DEP_4)
	v_fma_f32 v0, v38, v1, -v39
	v_fma_f32 v1, v32, v93, -v33
	v_mul_f32_e32 v32, v35, v95
	v_mul_f32_e32 v33, v35, v94
	;; [unrolled: 1-line block ×4, first 2 shown]
	s_delay_alu instid0(VALU_DEP_4) | instskip(NEXT) | instid1(VALU_DEP_4)
	v_dual_mul_f32 v35, v29, v105 :: v_dual_fmac_f32 v32, v34, v94
	v_fma_f32 v33, v34, v95, -v33
	v_mul_f32_e32 v34, v25, v111
	v_fmac_f32_e32 v38, v26, v2
	v_fma_f32 v2, v26, v3, -v27
	v_mul_f32_e32 v3, v21, v115
	v_dual_mul_f32 v89, v23, v97 :: v_dual_fmac_f32 v92, v16, v118
	v_mul_f32_e32 v95, v19, v109
	v_fmac_f32_e32 v35, v28, v104
	v_dual_fmac_f32 v34, v24, v110 :: v_dual_mul_f32 v23, v23, v96
	v_fmac_f32_e32 v3, v20, v114
	v_fmac_f32_e32 v89, v22, v96
	v_mul_f32_e32 v17, v17, v118
	v_fmac_f32_e32 v95, v18, v108
	v_mul_f32_e32 v19, v19, v108
	v_mul_f32_e32 v25, v25, v110
	v_fma_f32 v94, v22, v97, -v23
	v_mul_f32_e32 v96, v13, v113
	v_mul_f32_e32 v13, v13, v112
	v_fma_f32 v16, v16, v119, -v17
	v_fma_f32 v17, v18, v109, -v19
	v_mul_f32_e32 v18, v9, v117
	v_mul_f32_e32 v9, v9, v116
	v_sub_f32_e32 v23, v88, v35
	v_dual_sub_f32 v26, v32, v123 :: v_dual_mul_f32 v29, v29, v104
	v_mul_f32_e32 v37, v31, v107
	v_fma_f32 v39, v24, v111, -v25
	v_fmac_f32_e32 v96, v12, v112
	v_fma_f32 v12, v12, v113, -v13
	v_mul_f32_e32 v13, v15, v91
	v_dual_mul_f32 v19, v11, v103 :: v_dual_fmac_f32 v18, v8, v116
	v_fma_f32 v8, v8, v117, -v9
	v_mul_f32_e32 v9, v11, v102
	v_mul_f32_e32 v11, v5, v121
	v_add_f32_e32 v25, v1, v33
	v_sub_f32_e32 v1, v33, v1
	v_sub_f32_e32 v33, v26, v23
	v_fma_f32 v28, v28, v105, -v29
	v_fmac_f32_e32 v37, v30, v106
	v_mul_f32_e32 v21, v21, v114
	v_fmac_f32_e32 v13, v14, v90
	v_mul_f32_e32 v5, v5, v120
	;; [unrolled: 2-line block ×3, first 2 shown]
	v_mul_f32_e32 v29, v31, v106
	v_fma_f32 v93, v20, v115, -v21
	v_fmac_f32_e32 v19, v10, v102
	v_fma_f32 v9, v10, v103, -v9
	v_fma_f32 v10, v4, v121, -v5
	;; [unrolled: 1-line block ×3, first 2 shown]
	v_dual_add_f32 v4, v122, v37 :: v_dual_add_f32 v21, v88, v35
	v_add_f32_e32 v22, v0, v28
	v_sub_f32_e32 v0, v0, v28
	s_delay_alu instid0(VALU_DEP_4) | instskip(NEXT) | instid1(VALU_DEP_4)
	v_dual_add_f32 v5, v36, v29 :: v_dual_add_f32 v24, v123, v32
	v_dual_add_f32 v27, v21, v4 :: v_dual_sub_f32 v20, v36, v29
	s_delay_alu instid0(VALU_DEP_2) | instskip(NEXT) | instid1(VALU_DEP_3)
	v_dual_sub_f32 v29, v21, v4 :: v_dual_add_f32 v28, v22, v5
	v_sub_f32_e32 v4, v4, v24
	v_dual_sub_f32 v31, v24, v21 :: v_dual_add_f32 v32, v1, v0
	s_delay_alu instid0(VALU_DEP_4)
	v_dual_add_f32 v24, v24, v27 :: v_dual_mul_f32 v15, v15, v90
	v_sub_f32_e32 v30, v22, v5
	v_sub_f32_e32 v5, v5, v25
	;; [unrolled: 1-line block ×5, first 2 shown]
	v_add_f32_e32 v25, v25, v28
	v_sub_f32_e32 v0, v0, v20
	v_add_f32_e32 v27, v32, v20
	v_add_f32_e32 v20, v98, v24
	v_mul_f32_e32 v28, 0x3d64c772, v31
	v_fma_f32 v14, v14, v91, -v15
	v_mul_f32_e32 v15, v7, v81
	s_delay_alu instid0(VALU_DEP_4) | instskip(NEXT) | instid1(VALU_DEP_4)
	v_dual_mul_f32 v7, v7, v80 :: v_dual_fmamk_f32 v24, v24, 0xbf955555, v20
	v_fma_f32 v28, 0x3f3bfb3b, v29, -v28
	v_add_f32_e32 v21, v26, v23
	s_delay_alu instid0(VALU_DEP_4) | instskip(NEXT) | instid1(VALU_DEP_4)
	v_fmac_f32_e32 v15, v6, v80
	v_fma_f32 v6, v6, v81, -v7
	v_mul_f32_e32 v4, 0x3f4a47b2, v4
	v_dual_add_f32 v28, v28, v24 :: v_dual_sub_f32 v7, v122, v37
	v_mul_f32_e32 v5, 0x3f4a47b2, v5
	v_mul_f32_e32 v32, 0x3d64c772, v22
	;; [unrolled: 1-line block ×4, first 2 shown]
	v_sub_f32_e32 v23, v23, v7
	v_dual_sub_f32 v26, v7, v26 :: v_dual_add_f32 v7, v21, v7
	v_add_f32_e32 v21, v99, v25
	v_fmamk_f32 v31, v31, 0x3d64c772, v4
	s_delay_alu instid0(VALU_DEP_4)
	v_mul_f32_e32 v36, 0xbf5ff5aa, v23
	v_fmamk_f32 v22, v22, 0x3d64c772, v5
	v_fma_f32 v32, 0x3f3bfb3b, v30, -v32
	v_fmamk_f32 v25, v25, 0xbf955555, v21
	v_fma_f32 v4, 0xbf3bfb3b, v29, -v4
	v_fma_f32 v5, 0xbf3bfb3b, v30, -v5
	v_fmamk_f32 v80, v26, 0xbeae86e6, v33
	v_fmamk_f32 v81, v1, 0xbeae86e6, v35
	v_fma_f32 v29, 0xbf5ff5aa, v23, -v33
	v_fma_f32 v0, 0xbf5ff5aa, v0, -v35
	;; [unrolled: 1-line block ×4, first 2 shown]
	v_dual_add_f32 v35, v31, v24 :: v_dual_add_f32 v30, v32, v25
	v_dual_add_f32 v4, v4, v24 :: v_dual_add_f32 v5, v5, v25
	v_fmac_f32_e32 v81, 0xbee1c552, v27
	v_fmac_f32_e32 v29, 0xbee1c552, v7
	;; [unrolled: 1-line block ×5, first 2 shown]
	v_add_f32_e32 v36, v22, v25
	v_fmac_f32_e32 v80, 0xbee1c552, v7
	v_add_f32_e32 v24, v1, v4
	s_delay_alu instid0(VALU_DEP_4)
	v_dual_sub_f32 v25, v5, v33 :: v_dual_sub_f32 v26, v28, v0
	v_dual_add_f32 v27, v29, v30 :: v_dual_add_f32 v28, v0, v28
	v_sub_f32_e32 v29, v30, v29
	v_sub_f32_e32 v30, v4, v1
	v_add_f32_e32 v31, v33, v5
	v_sub_f32_e32 v32, v35, v81
	v_add_f32_e32 v1, v39, v17
	;; [unrolled: 2-line block ×3, first 2 shown]
	v_add_f32_e32 v17, v2, v16
	v_sub_f32_e32 v2, v2, v16
	v_add_f32_e32 v16, v3, v89
	v_add_f32_e32 v0, v34, v95
	v_dual_add_f32 v22, v81, v35 :: v_dual_sub_f32 v23, v36, v80
	v_dual_add_f32 v33, v80, v36 :: v_dual_sub_f32 v4, v34, v95
	v_dual_sub_f32 v34, v38, v92 :: v_dual_add_f32 v35, v93, v94
	v_dual_sub_f32 v3, v89, v3 :: v_dual_sub_f32 v36, v94, v93
	v_dual_add_f32 v37, v7, v0 :: v_dual_add_f32 v38, v17, v1
	v_dual_sub_f32 v39, v7, v0 :: v_dual_sub_f32 v80, v17, v1
	s_delay_alu instid0(VALU_DEP_4)
	v_dual_sub_f32 v0, v0, v16 :: v_dual_sub_f32 v1, v1, v35
	v_sub_f32_e32 v7, v16, v7
	v_add_f32_e32 v88, v36, v2
	v_sub_f32_e32 v89, v3, v34
	v_sub_f32_e32 v90, v36, v2
	v_dual_add_f32 v16, v16, v37 :: v_dual_add_f32 v37, v35, v38
	v_sub_f32_e32 v2, v2, v5
	v_sub_f32_e32 v17, v35, v17
	v_add_f32_e32 v81, v3, v34
	v_dual_sub_f32 v3, v4, v3 :: v_dual_sub_f32 v36, v5, v36
	v_sub_f32_e32 v91, v34, v4
	v_add_f32_e32 v5, v88, v5
	v_dual_add_f32 v34, v100, v16 :: v_dual_add_f32 v35, v101, v37
	v_dual_mul_f32 v0, 0x3f4a47b2, v0 :: v_dual_mul_f32 v1, 0x3f4a47b2, v1
	v_mul_f32_e32 v38, 0x3d64c772, v7
	v_dual_mul_f32 v88, 0x3f08b237, v89 :: v_dual_mul_f32 v89, 0x3f08b237, v90
	v_mul_f32_e32 v92, 0xbf5ff5aa, v2
	v_dual_add_f32 v4, v81, v4 :: v_dual_mul_f32 v81, 0x3d64c772, v17
	v_mul_f32_e32 v90, 0xbf5ff5aa, v91
	v_dual_fmamk_f32 v16, v16, 0xbf955555, v34 :: v_dual_fmamk_f32 v37, v37, 0xbf955555, v35
	v_fmamk_f32 v7, v7, 0x3d64c772, v0
	v_fmamk_f32 v17, v17, 0x3d64c772, v1
	v_fma_f32 v38, 0x3f3bfb3b, v39, -v38
	v_fma_f32 v0, 0xbf3bfb3b, v39, -v0
	v_dual_fmamk_f32 v93, v3, 0xbeae86e6, v88 :: v_dual_fmamk_f32 v94, v36, 0xbeae86e6, v89
	v_fma_f32 v2, 0xbf5ff5aa, v2, -v89
	v_fma_f32 v89, 0x3eae86e6, v36, -v92
	;; [unrolled: 1-line block ×6, first 2 shown]
	v_add_f32_e32 v7, v7, v16
	v_dual_add_f32 v17, v17, v37 :: v_dual_add_f32 v90, v38, v16
	v_add_f32_e32 v16, v0, v16
	v_dual_fmac_f32 v93, 0xbee1c552, v4 :: v_dual_fmac_f32 v94, 0xbee1c552, v5
	v_fmac_f32_e32 v89, 0xbee1c552, v5
	v_fmac_f32_e32 v2, 0xbee1c552, v5
	v_add_f32_e32 v91, v81, v37
	v_add_f32_e32 v92, v1, v37
	v_fmac_f32_e32 v88, 0xbee1c552, v4
	v_dual_fmac_f32 v3, 0xbee1c552, v4 :: v_dual_add_f32 v36, v94, v7
	v_sub_f32_e32 v37, v17, v93
	v_add_f32_e32 v38, v89, v16
	v_sub_f32_e32 v80, v90, v2
	v_add_f32_e32 v0, v2, v90
	v_sub_f32_e32 v2, v16, v89
	v_dual_sub_f32 v4, v7, v94 :: v_dual_add_f32 v5, v93, v17
	v_add_f32_e32 v7, v96, v15
	v_add_f32_e32 v16, v12, v6
	v_sub_f32_e32 v6, v12, v6
	v_dual_add_f32 v12, v13, v11 :: v_dual_add_f32 v17, v14, v10
	v_dual_sub_f32 v11, v13, v11 :: v_dual_sub_f32 v10, v14, v10
	v_dual_add_f32 v13, v18, v19 :: v_dual_add_f32 v14, v8, v9
	v_sub_f32_e32 v18, v19, v18
	s_delay_alu instid0(VALU_DEP_4)
	v_dual_sub_f32 v8, v9, v8 :: v_dual_add_f32 v9, v12, v7
	v_add_f32_e32 v19, v17, v16
	v_sub_f32_e32 v15, v96, v15
	v_sub_f32_e32 v39, v92, v3
	v_add_f32_e32 v81, v88, v91
	v_sub_f32_e32 v1, v91, v88
	v_dual_add_f32 v3, v3, v92 :: v_dual_sub_f32 v88, v12, v7
	v_dual_sub_f32 v89, v17, v16 :: v_dual_sub_f32 v90, v7, v13
	v_sub_f32_e32 v16, v16, v14
	v_dual_sub_f32 v12, v13, v12 :: v_dual_sub_f32 v17, v14, v17
	v_add_f32_e32 v7, v18, v11
	v_dual_add_f32 v91, v8, v10 :: v_dual_sub_f32 v92, v18, v11
	v_add_f32_e32 v9, v13, v9
	v_add_f32_e32 v13, v14, v19
	v_sub_f32_e32 v93, v8, v10
	v_dual_sub_f32 v11, v11, v15 :: v_dual_sub_f32 v10, v10, v6
	v_sub_f32_e32 v18, v15, v18
	v_sub_f32_e32 v8, v6, v8
	v_add_f32_e32 v14, v7, v15
	v_dual_add_f32 v15, v91, v6 :: v_dual_add_f32 v6, v86, v9
	v_add_f32_e32 v7, v87, v13
	v_dual_mul_f32 v19, 0x3f4a47b2, v90 :: v_dual_mul_f32 v16, 0x3f4a47b2, v16
	v_dual_mul_f32 v86, 0x3d64c772, v12 :: v_dual_mul_f32 v87, 0x3d64c772, v17
	;; [unrolled: 1-line block ×4, first 2 shown]
	v_fmamk_f32 v9, v9, 0xbf955555, v6
	v_fmamk_f32 v13, v13, 0xbf955555, v7
	v_dual_fmamk_f32 v12, v12, 0x3d64c772, v19 :: v_dual_fmamk_f32 v17, v17, 0x3d64c772, v16
	v_fma_f32 v86, 0x3f3bfb3b, v88, -v86
	v_fma_f32 v87, 0x3f3bfb3b, v89, -v87
	;; [unrolled: 1-line block ×3, first 2 shown]
	v_fmamk_f32 v88, v18, 0xbeae86e6, v90
	v_fma_f32 v90, 0xbf5ff5aa, v11, -v90
	v_fma_f32 v16, 0xbf3bfb3b, v89, -v16
	v_fmamk_f32 v89, v8, 0xbeae86e6, v91
	v_fma_f32 v91, 0xbf5ff5aa, v10, -v91
	v_fma_f32 v18, 0x3eae86e6, v18, -v92
	v_fma_f32 v92, 0x3eae86e6, v8, -v93
	v_add_f32_e32 v94, v17, v13
	v_add_f32_e32 v17, v86, v9
	;; [unrolled: 1-line block ×3, first 2 shown]
	v_dual_fmac_f32 v90, 0xbee1c552, v14 :: v_dual_add_f32 v93, v12, v9
	v_add_f32_e32 v19, v19, v9
	v_dual_add_f32 v87, v16, v13 :: v_dual_fmac_f32 v88, 0xbee1c552, v14
	v_fmac_f32_e32 v89, 0xbee1c552, v15
	v_fmac_f32_e32 v92, 0xbee1c552, v15
	v_dual_fmac_f32 v18, 0xbee1c552, v14 :: v_dual_fmac_f32 v91, 0xbee1c552, v15
	v_add_f32_e32 v13, v90, v86
	s_delay_alu instid0(VALU_DEP_3)
	v_dual_sub_f32 v15, v86, v90 :: v_dual_sub_f32 v16, v19, v92
	v_add_nc_u32_e32 v86, 0xc00, v173
	v_dual_add_f32 v8, v89, v93 :: v_dual_sub_f32 v9, v94, v88
	v_dual_add_f32 v10, v92, v19 :: v_dual_sub_f32 v11, v87, v18
	v_sub_f32_e32 v12, v17, v91
	v_dual_add_f32 v14, v91, v17 :: v_dual_add_f32 v17, v18, v87
	v_dual_sub_f32 v18, v93, v89 :: v_dual_add_f32 v19, v88, v94
	ds_store_2addr_b64 v206, v[20:21], v[22:23] offset1:12
	ds_store_2addr_b64 v206, v[24:25], v[26:27] offset0:24 offset1:36
	ds_store_2addr_b64 v206, v[28:29], v[30:31] offset0:48 offset1:60
	ds_store_b64 v206, v[32:33] offset:576
	ds_store_2addr_b64 v205, v[34:35], v[36:37] offset1:12
	ds_store_2addr_b64 v205, v[38:39], v[80:81] offset0:24 offset1:36
	ds_store_2addr_b64 v205, v[0:1], v[2:3] offset0:48 offset1:60
	ds_store_b64 v205, v[4:5] offset:576
	;; [unrolled: 4-line block ×3, first 2 shown]
	global_wb scope:SCOPE_SE
	s_wait_dscnt 0x0
	s_barrier_signal -1
	s_barrier_wait -1
	global_inv scope:SCOPE_SE
	ds_load_2addr_b64 v[20:23], v173 offset1:84
	ds_load_2addr_b64 v[36:39], v173 offset0:168 offset1:252
	ds_load_2addr_b64 v[32:35], v85 offset0:80 offset1:164
	;; [unrolled: 1-line block ×4, first 2 shown]
	ds_load_b64 v[80:81], v173 offset:6720
	s_and_saveexec_b32 s1, s0
	s_cbranch_execz .LBB0_27
; %bb.26:
	v_add_nc_u32_e32 v4, 0x400, v173
	v_add_nc_u32_e32 v16, 0x1400, v173
	ds_load_2addr_b64 v[0:3], v173 offset0:44 offset1:128
	ds_load_2addr_b64 v[8:11], v85 offset0:124 offset1:208
	;; [unrolled: 1-line block ×5, first 2 shown]
	ds_load_b64 v[82:83], v173 offset:7072
.LBB0_27:
	s_wait_alu 0xfffe
	s_or_b32 exec_lo, exec_lo, s1
	s_wait_dscnt 0x4
	v_dual_mul_f32 v87, v41, v23 :: v_dual_mul_f32 v88, v43, v37
	v_mul_f32_e32 v41, v41, v22
	v_mul_f32_e32 v43, v43, v36
	s_delay_alu instid0(VALU_DEP_3) | instskip(SKIP_1) | instid1(VALU_DEP_4)
	v_dual_fmac_f32 v87, v40, v22 :: v_dual_fmac_f32 v88, v42, v36
	v_mul_f32_e32 v36, v53, v39
	v_fma_f32 v22, v40, v23, -v41
	s_wait_dscnt 0x3
	v_dual_mul_f32 v40, v55, v33 :: v_dual_mul_f32 v23, v53, v38
	s_delay_alu instid0(VALU_DEP_3) | instskip(SKIP_2) | instid1(VALU_DEP_4)
	v_dual_mul_f32 v41, v55, v32 :: v_dual_fmac_f32 v36, v52, v38
	v_mul_f32_e32 v38, v49, v35
	v_fma_f32 v37, v42, v37, -v43
	v_fmac_f32_e32 v40, v54, v32
	v_fma_f32 v39, v52, v39, -v23
	v_fma_f32 v32, v54, v33, -v41
	s_wait_dscnt 0x2
	v_mul_f32_e32 v33, v51, v29
	v_mul_f32_e32 v23, v49, v34
	v_fmac_f32_e32 v38, v48, v34
	v_dual_add_f32 v34, v20, v87 :: v_dual_add_f32 v41, v21, v22
	s_delay_alu instid0(VALU_DEP_4) | instskip(NEXT) | instid1(VALU_DEP_4)
	v_fmac_f32_e32 v33, v50, v28
	v_fma_f32 v35, v48, v35, -v23
	v_mul_f32_e32 v23, v51, v28
	s_delay_alu instid0(VALU_DEP_4) | instskip(SKIP_2) | instid1(VALU_DEP_4)
	v_add_f32_e32 v28, v34, v88
	v_add_f32_e32 v34, v41, v37
	v_mul_f32_e32 v41, v45, v31
	v_fma_f32 v29, v50, v29, -v23
	s_delay_alu instid0(VALU_DEP_4) | instskip(NEXT) | instid1(VALU_DEP_3)
	v_dual_add_f32 v28, v28, v36 :: v_dual_mul_f32 v23, v45, v30
	v_dual_add_f32 v34, v34, v39 :: v_dual_fmac_f32 v41, v44, v30
	s_wait_dscnt 0x1
	v_mul_f32_e32 v30, v47, v25
	s_delay_alu instid0(VALU_DEP_3) | instskip(SKIP_4) | instid1(VALU_DEP_4)
	v_fma_f32 v31, v44, v31, -v23
	v_add_f32_e32 v23, v28, v40
	v_add_f32_e32 v28, v34, v32
	v_mul_f32_e32 v34, v47, v24
	v_fmac_f32_e32 v30, v46, v24
	v_dual_mul_f32 v24, v77, v27 :: v_dual_add_f32 v23, v23, v38
	s_delay_alu instid0(VALU_DEP_3) | instskip(SKIP_2) | instid1(VALU_DEP_3)
	v_fma_f32 v25, v46, v25, -v34
	s_wait_dscnt 0x0
	v_mul_f32_e32 v34, v79, v80
	v_dual_add_f32 v23, v23, v33 :: v_dual_add_f32 v28, v28, v35
	s_delay_alu instid0(VALU_DEP_2) | instskip(SKIP_1) | instid1(VALU_DEP_3)
	v_fma_f32 v34, v78, v81, -v34
	v_mul_f32_e32 v42, v79, v81
	v_add_f32_e32 v23, v23, v41
	s_delay_alu instid0(VALU_DEP_3) | instskip(SKIP_1) | instid1(VALU_DEP_2)
	v_dual_add_f32 v28, v28, v29 :: v_dual_sub_f32 v43, v22, v34
	v_add_f32_e32 v45, v22, v34
	v_dual_add_f32 v23, v23, v30 :: v_dual_add_f32 v28, v28, v31
	s_delay_alu instid0(VALU_DEP_3) | instskip(NEXT) | instid1(VALU_DEP_3)
	v_mul_f32_e32 v51, 0xbf7d64f0, v43
	v_dual_mul_f32 v47, 0x3f575c64, v45 :: v_dual_fmac_f32 v24, v76, v26
	v_dual_mul_f32 v26, v77, v26 :: v_dual_mul_f32 v53, 0xbe11bafb, v45
	s_delay_alu instid0(VALU_DEP_2) | instskip(NEXT) | instid1(VALU_DEP_2)
	v_dual_mul_f32 v77, 0xbf27a4f4, v45 :: v_dual_add_f32 v22, v23, v24
	v_fma_f32 v26, v76, v27, -v26
	v_dual_add_f32 v27, v28, v25 :: v_dual_fmac_f32 v42, v78, v80
	s_delay_alu instid0(VALU_DEP_2) | instskip(NEXT) | instid1(VALU_DEP_2)
	v_dual_mul_f32 v44, 0xbf0a6770, v43 :: v_dual_sub_f32 v81, v37, v26
	v_add_f32_e32 v23, v27, v26
	s_delay_alu instid0(VALU_DEP_3) | instskip(SKIP_2) | instid1(VALU_DEP_4)
	v_sub_f32_e32 v27, v87, v42
	v_add_f32_e32 v28, v87, v42
	v_add_f32_e32 v22, v22, v42
	;; [unrolled: 1-line block ×3, first 2 shown]
	s_delay_alu instid0(VALU_DEP_4) | instskip(SKIP_4) | instid1(VALU_DEP_4)
	v_fmamk_f32 v42, v27, 0x3f0a6770, v47
	v_fmac_f32_e32 v47, 0xbf0a6770, v27
	v_fmamk_f32 v55, v27, 0x3f7d64f0, v53
	v_fmac_f32_e32 v53, 0xbf7d64f0, v27
	v_dual_mul_f32 v54, 0xbf4178ce, v43 :: v_dual_add_f32 v87, v88, v24
	v_dual_add_f32 v47, v21, v47 :: v_dual_fmamk_f32 v46, v28, 0x3f575c64, v44
	v_fma_f32 v44, 0x3f575c64, v28, -v44
	v_add_f32_e32 v55, v21, v55
	v_add_f32_e32 v42, v21, v42
	s_delay_alu instid0(VALU_DEP_4) | instskip(NEXT) | instid1(VALU_DEP_4)
	v_dual_add_f32 v53, v21, v53 :: v_dual_add_f32 v34, v20, v46
	v_add_f32_e32 v44, v20, v44
	v_mul_f32_e32 v46, 0xbf68dda4, v43
	v_fmamk_f32 v52, v28, 0xbe11bafb, v51
	v_fma_f32 v51, 0xbe11bafb, v28, -v51
	v_mul_f32_e32 v48, 0x3ed4b147, v45
	v_fmamk_f32 v78, v27, 0x3f4178ce, v77
	v_fmamk_f32 v49, v28, 0x3ed4b147, v46
	v_fma_f32 v46, 0x3ed4b147, v28, -v46
	v_add_f32_e32 v51, v20, v51
	v_fmac_f32_e32 v77, 0xbf4178ce, v27
	v_fmamk_f32 v50, v27, 0x3f68dda4, v48
	v_fmac_f32_e32 v48, 0xbf68dda4, v27
	v_dual_add_f32 v46, v20, v46 :: v_dual_mul_f32 v43, 0xbe903f40, v43
	v_mul_f32_e32 v45, 0xbf75a155, v45
	v_add_f32_e32 v77, v21, v77
	v_add_f32_e32 v50, v21, v50
	;; [unrolled: 1-line block ×3, first 2 shown]
	v_sub_f32_e32 v24, v88, v24
	v_add_f32_e32 v26, v37, v26
	v_fmamk_f32 v76, v28, 0xbf27a4f4, v54
	v_fma_f32 v54, 0xbf27a4f4, v28, -v54
	v_fmamk_f32 v80, v27, 0x3e903f40, v45
	v_fmamk_f32 v79, v28, 0xbf75a155, v43
	v_fmac_f32_e32 v45, 0xbe903f40, v27
	v_mul_f32_e32 v27, 0x3ed4b147, v26
	v_add_f32_e32 v54, v20, v54
	s_delay_alu instid0(VALU_DEP_4)
	v_dual_add_f32 v80, v21, v80 :: v_dual_add_f32 v79, v20, v79
	v_dual_add_f32 v78, v21, v78 :: v_dual_mul_f32 v37, 0xbf68dda4, v81
	v_dual_add_f32 v21, v21, v45 :: v_dual_add_f32 v52, v20, v52
	v_fmamk_f32 v45, v24, 0x3f68dda4, v27
	v_add_f32_e32 v49, v20, v49
	v_fma_f32 v28, 0xbf75a155, v28, -v43
	v_fmamk_f32 v43, v87, 0x3ed4b147, v37
	s_delay_alu instid0(VALU_DEP_4) | instskip(SKIP_1) | instid1(VALU_DEP_4)
	v_dual_fmac_f32 v27, 0xbf68dda4, v24 :: v_dual_add_f32 v42, v45, v42
	v_dual_mul_f32 v45, 0xbf27a4f4, v26 :: v_dual_add_f32 v76, v20, v76
	v_add_f32_e32 v20, v20, v28
	s_delay_alu instid0(VALU_DEP_3) | instskip(SKIP_2) | instid1(VALU_DEP_3)
	v_dual_mul_f32 v28, 0xbf4178ce, v81 :: v_dual_add_f32 v27, v27, v47
	v_add_f32_e32 v34, v43, v34
	v_fma_f32 v37, 0x3ed4b147, v87, -v37
	v_fmamk_f32 v43, v87, 0xbf27a4f4, v28
	v_fma_f32 v28, 0xbf27a4f4, v87, -v28
	s_delay_alu instid0(VALU_DEP_3) | instskip(NEXT) | instid1(VALU_DEP_3)
	v_add_f32_e32 v37, v37, v44
	v_add_f32_e32 v43, v43, v49
	v_mul_f32_e32 v49, 0xbf75a155, v26
	s_delay_alu instid0(VALU_DEP_4) | instskip(NEXT) | instid1(VALU_DEP_2)
	v_add_f32_e32 v28, v28, v46
	v_fmamk_f32 v46, v24, 0xbe903f40, v49
	s_delay_alu instid0(VALU_DEP_1) | instskip(NEXT) | instid1(VALU_DEP_1)
	v_dual_fmamk_f32 v47, v24, 0x3f4178ce, v45 :: v_dual_add_f32 v46, v46, v55
	v_dual_mul_f32 v44, 0x3e903f40, v81 :: v_dual_add_f32 v47, v47, v50
	v_mul_f32_e32 v50, 0x3f7d64f0, v81
	s_delay_alu instid0(VALU_DEP_2) | instskip(SKIP_2) | instid1(VALU_DEP_2)
	v_fmamk_f32 v88, v87, 0xbf75a155, v44
	v_fma_f32 v44, 0xbf75a155, v87, -v44
	v_fmac_f32_e32 v45, 0xbf4178ce, v24
	v_dual_fmamk_f32 v55, v87, 0xbe11bafb, v50 :: v_dual_add_f32 v44, v44, v51
	s_delay_alu instid0(VALU_DEP_2) | instskip(SKIP_1) | instid1(VALU_DEP_3)
	v_add_f32_e32 v45, v45, v48
	v_dual_add_f32 v48, v88, v52 :: v_dual_mul_f32 v51, 0x3f0a6770, v81
	v_dual_mul_f32 v52, 0xbe11bafb, v26 :: v_dual_add_f32 v55, v55, v76
	v_fma_f32 v50, 0xbe11bafb, v87, -v50
	v_fmac_f32_e32 v49, 0x3e903f40, v24
	s_delay_alu instid0(VALU_DEP_4) | instskip(SKIP_1) | instid1(VALU_DEP_3)
	v_fmamk_f32 v76, v87, 0x3f575c64, v51
	v_mul_f32_e32 v26, 0x3f575c64, v26
	v_dual_add_f32 v50, v50, v54 :: v_dual_add_f32 v49, v49, v53
	s_delay_alu instid0(VALU_DEP_3)
	v_add_f32_e32 v54, v76, v79
	v_sub_f32_e32 v76, v39, v25
	v_add_f32_e32 v25, v39, v25
	v_fmamk_f32 v53, v24, 0xbf7d64f0, v52
	v_fmac_f32_e32 v52, 0x3f7d64f0, v24
	v_fma_f32 v51, 0x3f575c64, v87, -v51
	v_add_f32_e32 v39, v36, v30
	v_mul_f32_e32 v79, 0x3ed4b147, v25
	v_dual_add_f32 v53, v53, v78 :: v_dual_mul_f32 v78, 0xbf7d64f0, v76
	v_add_f32_e32 v52, v52, v77
	v_fmamk_f32 v77, v24, 0xbf0a6770, v26
	v_fmac_f32_e32 v26, 0x3f0a6770, v24
	v_sub_f32_e32 v24, v36, v30
	v_mul_f32_e32 v30, 0xbe11bafb, v25
	s_delay_alu instid0(VALU_DEP_3) | instskip(SKIP_1) | instid1(VALU_DEP_3)
	v_dual_add_f32 v20, v51, v20 :: v_dual_add_f32 v21, v26, v21
	v_dual_add_f32 v36, v77, v80 :: v_dual_fmamk_f32 v77, v39, 0xbe11bafb, v78
	v_fmamk_f32 v26, v24, 0x3f7d64f0, v30
	s_delay_alu instid0(VALU_DEP_2) | instskip(SKIP_1) | instid1(VALU_DEP_3)
	v_dual_mul_f32 v51, 0x3e903f40, v76 :: v_dual_add_f32 v34, v77, v34
	v_fma_f32 v77, 0xbe11bafb, v39, -v78
	v_add_f32_e32 v26, v26, v42
	s_delay_alu instid0(VALU_DEP_3) | instskip(SKIP_2) | instid1(VALU_DEP_3)
	v_fmamk_f32 v42, v39, 0xbf75a155, v51
	v_mul_f32_e32 v78, 0xbf75a155, v25
	v_fma_f32 v51, 0xbf75a155, v39, -v51
	v_dual_add_f32 v37, v77, v37 :: v_dual_add_f32 v42, v42, v43
	s_delay_alu instid0(VALU_DEP_2) | instskip(SKIP_1) | instid1(VALU_DEP_2)
	v_dual_fmamk_f32 v43, v24, 0xbe903f40, v78 :: v_dual_add_f32 v28, v51, v28
	v_mul_f32_e32 v51, 0xbf0a6770, v76
	v_dual_add_f32 v43, v43, v47 :: v_dual_fmac_f32 v30, 0xbf7d64f0, v24
	s_delay_alu instid0(VALU_DEP_1) | instskip(NEXT) | instid1(VALU_DEP_1)
	v_dual_add_f32 v27, v30, v27 :: v_dual_mul_f32 v30, 0x3f68dda4, v76
	v_fmamk_f32 v77, v39, 0x3ed4b147, v30
	v_fma_f32 v30, 0x3ed4b147, v39, -v30
	v_mul_f32_e32 v76, 0xbf4178ce, v76
	s_delay_alu instid0(VALU_DEP_3) | instskip(SKIP_1) | instid1(VALU_DEP_4)
	v_dual_add_f32 v47, v77, v48 :: v_dual_fmamk_f32 v48, v24, 0xbf68dda4, v79
	v_fmac_f32_e32 v79, 0x3f68dda4, v24
	v_dual_mul_f32 v77, 0x3f575c64, v25 :: v_dual_add_f32 v30, v30, v44
	v_mul_f32_e32 v25, 0xbf27a4f4, v25
	s_delay_alu instid0(VALU_DEP_2) | instskip(SKIP_1) | instid1(VALU_DEP_2)
	v_dual_add_f32 v44, v79, v49 :: v_dual_fmamk_f32 v49, v24, 0x3f0a6770, v77
	v_fmac_f32_e32 v77, 0xbf0a6770, v24
	v_add_f32_e32 v49, v49, v53
	v_fmamk_f32 v53, v39, 0xbf27a4f4, v76
	s_delay_alu instid0(VALU_DEP_1) | instskip(SKIP_1) | instid1(VALU_DEP_1)
	v_dual_add_f32 v53, v53, v54 :: v_dual_fmamk_f32 v54, v24, 0x3f4178ce, v25
	v_fmac_f32_e32 v25, 0xbf4178ce, v24
	v_dual_add_f32 v21, v25, v21 :: v_dual_add_f32 v46, v48, v46
	v_fmamk_f32 v48, v39, 0x3f575c64, v51
	v_fma_f32 v51, 0x3f575c64, v39, -v51
	s_delay_alu instid0(VALU_DEP_1) | instskip(SKIP_4) | instid1(VALU_DEP_3)
	v_dual_add_f32 v50, v51, v50 :: v_dual_add_f32 v51, v77, v52
	v_fmac_f32_e32 v78, 0x3e903f40, v24
	v_sub_f32_e32 v52, v32, v31
	v_add_f32_e32 v31, v32, v31
	v_sub_f32_e32 v24, v40, v41
	v_mul_f32_e32 v32, 0xbf4178ce, v52
	v_add_f32_e32 v48, v48, v55
	v_add_f32_e32 v55, v40, v41
	v_dual_add_f32 v45, v78, v45 :: v_dual_mul_f32 v40, 0xbf27a4f4, v31
	s_delay_alu instid0(VALU_DEP_1) | instskip(SKIP_1) | instid1(VALU_DEP_1)
	v_fmamk_f32 v25, v24, 0x3f4178ce, v40
	v_fmac_f32_e32 v40, 0xbf4178ce, v24
	v_add_f32_e32 v27, v40, v27
	v_fmamk_f32 v41, v55, 0xbf27a4f4, v32
	v_fma_f32 v32, 0xbf27a4f4, v55, -v32
	s_delay_alu instid0(VALU_DEP_2) | instskip(SKIP_2) | instid1(VALU_DEP_4)
	v_add_f32_e32 v34, v41, v34
	v_add_f32_e32 v25, v25, v26
	v_fma_f32 v39, 0xbf27a4f4, v39, -v76
	v_add_f32_e32 v32, v32, v37
	s_delay_alu instid0(VALU_DEP_2) | instskip(SKIP_1) | instid1(VALU_DEP_1)
	v_add_f32_e32 v20, v39, v20
	v_mul_f32_e32 v39, 0x3f7d64f0, v52
	v_dual_mul_f32 v26, 0xbe11bafb, v31 :: v_dual_fmamk_f32 v41, v55, 0xbe11bafb, v39
	s_delay_alu instid0(VALU_DEP_1) | instskip(SKIP_2) | instid1(VALU_DEP_3)
	v_fmamk_f32 v40, v24, 0xbf7d64f0, v26
	v_mul_f32_e32 v37, 0xbf0a6770, v52
	v_fma_f32 v39, 0xbe11bafb, v55, -v39
	v_dual_add_f32 v41, v41, v42 :: v_dual_add_f32 v40, v40, v43
	s_delay_alu instid0(VALU_DEP_3) | instskip(SKIP_1) | instid1(VALU_DEP_4)
	v_fmamk_f32 v42, v55, 0x3f575c64, v37
	v_dual_add_f32 v36, v54, v36 :: v_dual_mul_f32 v43, 0x3f575c64, v31
	v_add_f32_e32 v28, v39, v28
	v_fma_f32 v37, 0x3f575c64, v55, -v37
	s_delay_alu instid0(VALU_DEP_4) | instskip(SKIP_2) | instid1(VALU_DEP_2)
	v_add_f32_e32 v42, v42, v47
	v_mul_f32_e32 v47, 0xbf75a155, v31
	v_mul_f32_e32 v31, 0x3ed4b147, v31
	v_dual_add_f32 v37, v37, v30 :: v_dual_fmamk_f32 v30, v24, 0x3e903f40, v47
	v_fmac_f32_e32 v47, 0xbe903f40, v24
	s_delay_alu instid0(VALU_DEP_1) | instskip(NEXT) | instid1(VALU_DEP_1)
	v_dual_fmac_f32 v26, 0x3f7d64f0, v24 :: v_dual_add_f32 v47, v47, v51
	v_dual_add_f32 v39, v26, v45 :: v_dual_mul_f32 v26, 0xbe903f40, v52
	v_fmamk_f32 v45, v24, 0x3f0a6770, v43
	v_fmac_f32_e32 v43, 0xbf0a6770, v24
	s_delay_alu instid0(VALU_DEP_2)
	v_dual_fmamk_f32 v54, v55, 0xbf75a155, v26 :: v_dual_add_f32 v45, v45, v46
	v_mul_f32_e32 v46, 0x3f68dda4, v52
	v_sub_f32_e32 v52, v35, v29
	v_add_f32_e32 v35, v35, v29
	v_add_f32_e32 v43, v43, v44
	;; [unrolled: 1-line block ×4, first 2 shown]
	v_fmamk_f32 v30, v55, 0x3ed4b147, v46
	s_delay_alu instid0(VALU_DEP_1)
	v_add_f32_e32 v51, v30, v53
	v_add_f32_e32 v53, v38, v33
	v_fma_f32 v26, 0xbf75a155, v55, -v26
	v_sub_f32_e32 v33, v38, v33
	v_fma_f32 v29, 0x3ed4b147, v55, -v46
	v_fmamk_f32 v49, v24, 0xbf68dda4, v31
	v_fmac_f32_e32 v31, 0x3f68dda4, v24
	v_mul_f32_e32 v30, 0xbf75a155, v35
	v_add_f32_e32 v50, v26, v50
	v_dual_add_f32 v46, v29, v20 :: v_dual_mul_f32 v55, 0xbf27a4f4, v35
	s_delay_alu instid0(VALU_DEP_4) | instskip(NEXT) | instid1(VALU_DEP_4)
	v_dual_add_f32 v54, v31, v21 :: v_dual_mul_f32 v29, 0x3f0a6770, v52
	v_fmamk_f32 v21, v33, 0x3e903f40, v30
	v_fmac_f32_e32 v30, 0xbe903f40, v33
	v_mul_f32_e32 v26, 0xbe903f40, v52
	v_mul_f32_e32 v31, 0x3f575c64, v35
	v_add_f32_e32 v49, v49, v36
	v_add_f32_e32 v21, v21, v25
	v_dual_add_f32 v25, v30, v27 :: v_dual_mul_f32 v30, 0xbf4178ce, v52
	s_delay_alu instid0(VALU_DEP_4) | instskip(SKIP_2) | instid1(VALU_DEP_4)
	v_fmamk_f32 v27, v33, 0xbf0a6770, v31
	v_fmamk_f32 v24, v53, 0xbf75a155, v26
	v_mul_f32_e32 v38, 0x3ed4b147, v35
	v_fma_f32 v36, 0xbf27a4f4, v53, -v30
	s_delay_alu instid0(VALU_DEP_3) | instskip(SKIP_1) | instid1(VALU_DEP_1)
	v_dual_add_f32 v27, v27, v40 :: v_dual_add_f32 v20, v24, v34
	v_fma_f32 v24, 0xbf75a155, v53, -v26
	v_add_f32_e32 v24, v24, v32
	v_fmamk_f32 v32, v53, 0xbf27a4f4, v30
	s_delay_alu instid0(VALU_DEP_1) | instskip(SKIP_4) | instid1(VALU_DEP_2)
	v_add_f32_e32 v30, v32, v42
	v_add_f32_e32 v32, v36, v37
	v_fmamk_f32 v36, v33, 0xbf68dda4, v38
	v_fmamk_f32 v26, v53, 0x3f575c64, v29
	v_fma_f32 v29, 0x3f575c64, v53, -v29
	v_dual_add_f32 v26, v26, v41 :: v_dual_mul_f32 v41, 0xbe11bafb, v35
	s_delay_alu instid0(VALU_DEP_2) | instskip(NEXT) | instid1(VALU_DEP_2)
	v_dual_fmac_f32 v31, 0x3f0a6770, v33 :: v_dual_add_f32 v28, v29, v28
	v_fmamk_f32 v42, v33, 0x3f7d64f0, v41
	s_delay_alu instid0(VALU_DEP_2) | instskip(NEXT) | instid1(VALU_DEP_1)
	v_dual_mul_f32 v34, 0x3f68dda4, v52 :: v_dual_add_f32 v29, v31, v39
	v_fmamk_f32 v39, v53, 0x3ed4b147, v34
	v_fmamk_f32 v31, v33, 0x3f4178ce, v55
	v_fma_f32 v37, 0x3ed4b147, v53, -v34
	s_delay_alu instid0(VALU_DEP_3) | instskip(SKIP_1) | instid1(VALU_DEP_1)
	v_dual_fmac_f32 v55, 0xbf4178ce, v33 :: v_dual_add_f32 v34, v39, v44
	v_mul_f32_e32 v39, 0xbf7d64f0, v52
	v_dual_add_f32 v31, v31, v45 :: v_dual_fmamk_f32 v40, v53, 0xbe11bafb, v39
	v_fmac_f32_e32 v41, 0xbf7d64f0, v33
	v_fmac_f32_e32 v38, 0x3f68dda4, v33
	v_fma_f32 v44, 0xbe11bafb, v53, -v39
	v_add_f32_e32 v39, v42, v49
	v_add_f32_e32 v33, v55, v43
	;; [unrolled: 1-line block ×3, first 2 shown]
	v_dual_add_f32 v35, v36, v48 :: v_dual_add_f32 v36, v37, v50
	v_add_f32_e32 v37, v38, v47
	v_add_f32_e32 v38, v40, v51
	;; [unrolled: 1-line block ×3, first 2 shown]
	ds_store_2addr_b64 v173, v[22:23], v[20:21] offset1:84
	ds_store_2addr_b64 v173, v[26:27], v[30:31] offset0:168 offset1:252
	ds_store_2addr_b64 v85, v[34:35], v[38:39] offset0:80 offset1:164
	;; [unrolled: 1-line block ×4, first 2 shown]
	ds_store_b64 v173, v[24:25] offset:6720
	s_and_saveexec_b32 s1, s0
	s_cbranch_execz .LBB0_29
; %bb.28:
	v_mul_f32_e32 v21, v75, v83
	v_mul_f32_e32 v20, v57, v3
	v_dual_mul_f32 v22, v75, v82 :: v_dual_mul_f32 v25, v73, v19
	v_dual_mul_f32 v23, v57, v2 :: v_dual_mul_f32 v24, v59, v5
	s_delay_alu instid0(VALU_DEP_4) | instskip(NEXT) | instid1(VALU_DEP_4)
	v_fmac_f32_e32 v21, v74, v82
	v_fmac_f32_e32 v20, v56, v2
	s_delay_alu instid0(VALU_DEP_4) | instskip(NEXT) | instid1(VALU_DEP_4)
	v_fma_f32 v22, v74, v83, -v22
	v_fma_f32 v23, v56, v3, -v23
	v_dual_fmac_f32 v24, v58, v4 :: v_dual_fmac_f32 v25, v72, v18
	s_delay_alu instid0(VALU_DEP_4) | instskip(NEXT) | instid1(VALU_DEP_3)
	v_dual_mul_f32 v4, v59, v4 :: v_dual_sub_f32 v3, v20, v21
	v_dual_mul_f32 v18, v73, v18 :: v_dual_add_f32 v27, v22, v23
	v_mul_f32_e32 v31, v71, v17
	v_mul_f32_e32 v32, v67, v9
	s_delay_alu instid0(VALU_DEP_4) | instskip(NEXT) | instid1(VALU_DEP_4)
	v_mul_f32_e32 v26, 0xbf68dda4, v3
	v_fma_f32 v18, v72, v19, -v18
	v_fma_f32 v19, v58, v5, -v4
	v_dual_sub_f32 v2, v24, v25 :: v_dual_mul_f32 v33, v69, v15
	v_mul_f32_e32 v30, v65, v7
	v_dual_fmamk_f32 v4, v27, 0x3ed4b147, v26 :: v_dual_fmac_f32 v31, v70, v16
	s_delay_alu instid0(VALU_DEP_3) | instskip(NEXT) | instid1(VALU_DEP_4)
	v_dual_add_f32 v29, v18, v19 :: v_dual_mul_f32 v28, 0xbf4178ce, v2
	v_dual_mul_f32 v16, v71, v16 :: v_dual_fmac_f32 v33, v68, v14
	s_delay_alu instid0(VALU_DEP_4) | instskip(SKIP_1) | instid1(VALU_DEP_4)
	v_fmac_f32_e32 v30, v64, v6
	v_mul_f32_e32 v6, v65, v6
	v_fmamk_f32 v5, v29, 0xbf27a4f4, v28
	s_delay_alu instid0(VALU_DEP_4)
	v_fma_f32 v16, v70, v17, -v16
	v_mul_f32_e32 v41, v63, v13
	v_dual_sub_f32 v42, v23, v22 :: v_dual_add_f32 v43, v21, v20
	v_fma_f32 v17, v64, v7, -v6
	v_dual_mul_f32 v6, v69, v14 :: v_dual_mul_f32 v7, v67, v8
	v_add_f32_e32 v4, v1, v4
	v_fmac_f32_e32 v41, v62, v12
	s_delay_alu instid0(VALU_DEP_4) | instskip(NEXT) | instid1(VALU_DEP_4)
	v_add_f32_e32 v35, v16, v17
	v_fma_f32 v37, v68, v15, -v6
	v_fma_f32 v38, v66, v9, -v7
	v_sub_f32_e32 v34, v30, v31
	v_dual_add_f32 v4, v5, v4 :: v_dual_sub_f32 v45, v19, v18
	v_dual_add_f32 v48, v25, v24 :: v_dual_mul_f32 v9, 0xbf4178ce, v3
	s_delay_alu instid0(VALU_DEP_4) | instskip(NEXT) | instid1(VALU_DEP_4)
	v_dual_add_f32 v39, v37, v38 :: v_dual_fmac_f32 v32, v66, v8
	v_mul_f32_e32 v14, 0x3e903f40, v34
	s_delay_alu instid0(VALU_DEP_4) | instskip(SKIP_1) | instid1(VALU_DEP_4)
	v_mul_f32_e32 v49, 0xbf4178ce, v45
	v_mul_f32_e32 v66, 0xbf75a155, v27
	;; [unrolled: 1-line block ×3, first 2 shown]
	s_delay_alu instid0(VALU_DEP_4) | instskip(SKIP_3) | instid1(VALU_DEP_4)
	v_dual_sub_f32 v36, v32, v33 :: v_dual_fmamk_f32 v5, v35, 0xbf75a155, v14
	v_mul_f32_e32 v72, 0xbe903f40, v42
	v_fma_f32 v26, 0x3ed4b147, v27, -v26
	v_sub_f32_e32 v55, v38, v37
	v_mul_f32_e32 v15, 0x3f7d64f0, v36
	v_dual_add_f32 v4, v5, v4 :: v_dual_add_f32 v53, v31, v30
	v_fma_f32 v78, 0xbf27a4f4, v27, -v9
	s_delay_alu instid0(VALU_DEP_4) | instskip(NEXT) | instid1(VALU_DEP_4)
	v_mul_f32_e32 v68, 0xbe903f40, v55
	v_dual_fmamk_f32 v5, v39, 0xbe11bafb, v15 :: v_dual_add_f32 v56, v33, v32
	v_add_f32_e32 v26, v1, v26
	v_fma_f32 v28, 0xbf27a4f4, v29, -v28
	v_sub_f32_e32 v51, v17, v16
	s_delay_alu instid0(VALU_DEP_4) | instskip(SKIP_2) | instid1(VALU_DEP_4)
	v_add_f32_e32 v4, v5, v4
	v_dual_mul_f32 v5, v63, v12 :: v_dual_mul_f32 v12, 0xbf68dda4, v42
	v_fma_f32 v14, 0xbf75a155, v35, -v14
	v_mul_f32_e32 v54, 0x3e903f40, v51
	v_fma_f32 v15, 0xbe11bafb, v39, -v15
	s_delay_alu instid0(VALU_DEP_4)
	v_fma_f32 v46, v62, v13, -v5
	v_fma_f32 v5, 0x3ed4b147, v43, -v12
	v_mul_f32_e32 v40, v61, v11
	v_fma_f32 v8, 0xbf75a155, v53, -v54
	v_mul_f32_e32 v82, 0xbf0a6770, v55
	v_mul_f32_e32 v57, 0x3f7d64f0, v55
	v_add_f32_e32 v5, v0, v5
	v_dual_fmac_f32 v40, v60, v10 :: v_dual_mul_f32 v71, 0xbf27a4f4, v35
	v_mul_f32_e32 v13, 0xbf4178ce, v42
	v_mul_f32_e32 v65, 0xbf0a6770, v51
	v_mul_f32_e32 v69, 0x3f575c64, v29
	s_delay_alu instid0(VALU_DEP_4) | instskip(SKIP_1) | instid1(VALU_DEP_4)
	v_dual_sub_f32 v44, v40, v41 :: v_dual_add_f32 v59, v41, v40
	v_mul_f32_e32 v77, 0xbf4178ce, v51
	v_fma_f32 v67, 0x3f575c64, v53, -v65
	s_delay_alu instid0(VALU_DEP_4) | instskip(NEXT) | instid1(VALU_DEP_4)
	v_fmamk_f32 v70, v2, 0xbf0a6770, v69
	v_mul_f32_e32 v50, 0x3f0a6770, v44
	v_dual_mul_f32 v6, v61, v10 :: v_dual_mul_f32 v61, 0xbe903f40, v36
	v_fmamk_f32 v73, v34, 0x3f4178ce, v71
	v_mul_f32_e32 v79, 0x3f68dda4, v55
	v_fmac_f32_e32 v65, 0x3f575c64, v53
	s_delay_alu instid0(VALU_DEP_4) | instskip(SKIP_3) | instid1(VALU_DEP_4)
	v_fma_f32 v47, v60, v11, -v6
	v_fma_f32 v6, 0xbf27a4f4, v48, -v49
	v_mul_f32_e32 v11, 0xbf0a6770, v34
	v_dual_fmac_f32 v49, 0xbf27a4f4, v48 :: v_dual_add_f32 v26, v28, v26
	v_add_f32_e32 v52, v46, v47
	s_delay_alu instid0(VALU_DEP_4) | instskip(SKIP_1) | instid1(VALU_DEP_4)
	v_add_f32_e32 v6, v6, v5
	v_add_f32_e32 v23, v23, v1
	v_dual_mul_f32 v81, 0x3f68dda4, v51 :: v_dual_add_f32 v14, v14, v26
	s_delay_alu instid0(VALU_DEP_4) | instskip(SKIP_1) | instid1(VALU_DEP_4)
	v_fmamk_f32 v7, v52, 0x3f575c64, v50
	v_mul_f32_e32 v75, 0xbe11bafb, v52
	v_add_f32_e32 v19, v19, v23
	s_delay_alu instid0(VALU_DEP_4) | instskip(NEXT) | instid1(VALU_DEP_4)
	v_add_f32_e32 v14, v15, v14
	v_dual_add_f32 v5, v7, v4 :: v_dual_add_f32 v4, v8, v6
	v_dual_sub_f32 v58, v47, v46 :: v_dual_mul_f32 v63, 0x3f68dda4, v44
	v_fmamk_f32 v6, v27, 0xbf27a4f4, v9
	v_mul_f32_e32 v8, 0x3f7d64f0, v2
	v_fma_f32 v7, 0xbe11bafb, v56, -v57
	s_delay_alu instid0(VALU_DEP_4) | instskip(NEXT) | instid1(VALU_DEP_4)
	v_dual_mul_f32 v60, 0x3f0a6770, v58 :: v_dual_add_f32 v17, v17, v19
	v_add_f32_e32 v6, v1, v6
	s_delay_alu instid0(VALU_DEP_4) | instskip(NEXT) | instid1(VALU_DEP_4)
	v_fmamk_f32 v10, v29, 0xbe11bafb, v8
	v_add_f32_e32 v4, v7, v4
	s_delay_alu instid0(VALU_DEP_4) | instskip(SKIP_1) | instid1(VALU_DEP_4)
	v_fma_f32 v7, 0x3f575c64, v59, -v60
	v_dual_mul_f32 v26, 0x3f575c64, v27 :: v_dual_add_f32 v17, v38, v17
	v_add_f32_e32 v6, v10, v6
	v_fmamk_f32 v10, v35, 0x3f575c64, v11
	s_delay_alu instid0(VALU_DEP_4)
	v_add_f32_e32 v4, v7, v4
	v_fma_f32 v7, 0xbf27a4f4, v43, -v13
	v_fmac_f32_e32 v13, 0xbf27a4f4, v43
	v_fma_f32 v11, 0x3f575c64, v35, -v11
	v_add_f32_e32 v6, v10, v6
	v_fmamk_f32 v10, v39, 0xbf75a155, v61
	v_fma_f32 v61, 0xbf75a155, v39, -v61
	v_dual_mul_f32 v62, 0x3f7d64f0, v45 :: v_dual_add_f32 v7, v0, v7
	s_delay_alu instid0(VALU_DEP_3) | instskip(SKIP_1) | instid1(VALU_DEP_3)
	v_dual_add_f32 v13, v0, v13 :: v_dual_add_f32 v6, v10, v6
	v_fmamk_f32 v10, v52, 0x3ed4b147, v63
	v_fma_f32 v64, 0xbe11bafb, v48, -v62
	v_add_f32_e32 v19, v0, v20
	v_fmac_f32_e32 v57, 0xbe11bafb, v56
	v_fmamk_f32 v15, v3, 0x3f0a6770, v26
	s_delay_alu instid0(VALU_DEP_4) | instskip(SKIP_2) | instid1(VALU_DEP_3)
	v_dual_add_f32 v17, v47, v17 :: v_dual_add_f32 v64, v64, v7
	v_dual_add_f32 v7, v10, v6 :: v_dual_fmamk_f32 v6, v3, 0x3e903f40, v66
	v_fmac_f32_e32 v54, 0xbf75a155, v53
	v_dual_fmac_f32 v60, 0x3f575c64, v59 :: v_dual_add_f32 v17, v46, v17
	s_delay_alu instid0(VALU_DEP_4) | instskip(SKIP_4) | instid1(VALU_DEP_4)
	v_add_f32_e32 v10, v67, v64
	v_fma_f32 v64, 0xbf75a155, v56, -v68
	v_mul_f32_e32 v67, 0x3f68dda4, v58
	v_dual_add_f32 v6, v1, v6 :: v_dual_add_f32 v19, v24, v19
	v_dual_mul_f32 v24, 0xbf7d64f0, v51 :: v_dual_add_f32 v17, v37, v17
	v_add_f32_e32 v10, v64, v10
	s_delay_alu instid0(VALU_DEP_4) | instskip(NEXT) | instid1(VALU_DEP_4)
	v_fma_f32 v64, 0x3ed4b147, v59, -v67
	v_dual_add_f32 v70, v70, v6 :: v_dual_fmac_f32 v67, 0x3ed4b147, v59
	v_add_f32_e32 v19, v30, v19
	v_dual_mul_f32 v30, 0xbf4178ce, v55 :: v_dual_add_f32 v37, v16, v17
	s_delay_alu instid0(VALU_DEP_4) | instskip(SKIP_4) | instid1(VALU_DEP_4)
	v_add_f32_e32 v6, v64, v10
	v_fmamk_f32 v10, v43, 0xbf75a155, v72
	v_mul_f32_e32 v64, 0x3f0a6770, v45
	v_dual_add_f32 v70, v73, v70 :: v_dual_fmamk_f32 v73, v36, 0xbf68dda4, v74
	v_dual_add_f32 v19, v32, v19 :: v_dual_mul_f32 v32, 0xbe903f40, v58
	v_add_f32_e32 v10, v0, v10
	s_delay_alu instid0(VALU_DEP_4) | instskip(NEXT) | instid1(VALU_DEP_4)
	v_fmamk_f32 v76, v48, 0x3f575c64, v64
	v_dual_add_f32 v70, v73, v70 :: v_dual_fmamk_f32 v73, v44, 0x3f7d64f0, v75
	v_fma_f32 v8, 0xbe11bafb, v29, -v8
	v_add_f32_e32 v18, v18, v37
	s_delay_alu instid0(VALU_DEP_4) | instskip(SKIP_4) | instid1(VALU_DEP_4)
	v_add_f32_e32 v10, v76, v10
	v_fmamk_f32 v76, v53, 0xbf27a4f4, v77
	v_add_f32_e32 v9, v73, v70
	v_dual_add_f32 v70, v1, v78 :: v_dual_fmamk_f32 v73, v56, 0x3ed4b147, v79
	v_mul_f32_e32 v78, 0xbf27a4f4, v52
	v_dual_add_f32 v10, v76, v10 :: v_dual_fmac_f32 v75, 0xbf7d64f0, v44
	s_delay_alu instid0(VALU_DEP_3) | instskip(NEXT) | instid1(VALU_DEP_2)
	v_add_f32_e32 v8, v8, v70
	v_dual_add_f32 v10, v73, v10 :: v_dual_mul_f32 v73, 0x3e903f40, v45
	s_delay_alu instid0(VALU_DEP_2) | instskip(SKIP_3) | instid1(VALU_DEP_4)
	v_add_f32_e32 v11, v11, v8
	v_mul_f32_e32 v45, 0xbf68dda4, v45
	v_fmac_f32_e32 v12, 0x3ed4b147, v43
	v_mul_f32_e32 v76, 0xbf7d64f0, v58
	v_dual_fmamk_f32 v80, v48, 0xbf75a155, v73 :: v_dual_add_f32 v11, v61, v11
	v_fmac_f32_e32 v62, 0xbe11bafb, v48
	s_delay_alu instid0(VALU_DEP_3) | instskip(NEXT) | instid1(VALU_DEP_1)
	v_fmamk_f32 v70, v59, 0xbe11bafb, v76
	v_add_f32_e32 v8, v70, v10
	v_mul_f32_e32 v70, 0xbe11bafb, v27
	s_delay_alu instid0(VALU_DEP_4) | instskip(SKIP_3) | instid1(VALU_DEP_4)
	v_add_f32_e32 v10, v62, v13
	v_fma_f32 v13, 0x3ed4b147, v52, -v63
	v_mul_f32_e32 v62, 0xbf75a155, v29
	v_mul_f32_e32 v63, 0x3ed4b147, v35
	v_dual_fmamk_f32 v61, v3, 0x3f7d64f0, v70 :: v_dual_add_f32 v10, v65, v10
	s_delay_alu instid0(VALU_DEP_4) | instskip(SKIP_1) | instid1(VALU_DEP_3)
	v_add_f32_e32 v11, v13, v11
	v_mul_f32_e32 v65, 0xbf7d64f0, v42
	v_dual_mul_f32 v42, 0xbf0a6770, v42 :: v_dual_add_f32 v13, v1, v61
	v_fmamk_f32 v61, v2, 0xbe903f40, v62
	v_fmac_f32_e32 v68, 0xbf75a155, v56
	s_delay_alu instid0(VALU_DEP_2) | instskip(NEXT) | instid1(VALU_DEP_2)
	v_dual_fmac_f32 v70, 0xbf7d64f0, v3 :: v_dual_add_f32 v13, v61, v13
	v_dual_add_f32 v10, v68, v10 :: v_dual_fmamk_f32 v61, v34, 0xbf68dda4, v63
	v_mul_f32_e32 v68, 0x3f575c64, v39
	v_mul_f32_e32 v39, 0xbf27a4f4, v39
	v_fmac_f32_e32 v63, 0x3f68dda4, v34
	s_delay_alu instid0(VALU_DEP_4) | instskip(SKIP_3) | instid1(VALU_DEP_3)
	v_add_f32_e32 v10, v67, v10
	v_fmamk_f32 v67, v43, 0xbe11bafb, v65
	v_add_f32_e32 v13, v61, v13
	v_fmamk_f32 v61, v36, 0x3f0a6770, v68
	v_add_f32_e32 v67, v0, v67
	s_delay_alu instid0(VALU_DEP_2) | instskip(SKIP_1) | instid1(VALU_DEP_3)
	v_add_f32_e32 v13, v61, v13
	v_fmamk_f32 v61, v44, 0x3f4178ce, v78
	v_dual_fmac_f32 v74, 0x3f68dda4, v36 :: v_dual_add_f32 v67, v80, v67
	v_fmamk_f32 v80, v53, 0x3ed4b147, v81
	s_delay_alu instid0(VALU_DEP_3) | instskip(NEXT) | instid1(VALU_DEP_2)
	v_add_f32_e32 v13, v61, v13
	v_add_f32_e32 v61, v80, v67
	v_fmamk_f32 v67, v56, 0x3f575c64, v82
	v_mul_f32_e32 v80, 0xbf4178ce, v58
	s_delay_alu instid0(VALU_DEP_2) | instskip(NEXT) | instid1(VALU_DEP_2)
	v_add_f32_e32 v28, v67, v61
	v_fmamk_f32 v61, v59, 0xbf27a4f4, v80
	v_add_f32_e32 v67, v0, v12
	s_delay_alu instid0(VALU_DEP_2) | instskip(NEXT) | instid1(VALU_DEP_2)
	v_add_f32_e32 v12, v61, v28
	v_dual_add_f32 v27, v49, v67 :: v_dual_mul_f32 v28, 0x3ed4b147, v29
	v_fma_f32 v29, 0x3f575c64, v52, -v50
	v_dual_add_f32 v49, v1, v15 :: v_dual_fmac_f32 v62, 0x3e903f40, v2
	s_delay_alu instid0(VALU_DEP_3) | instskip(NEXT) | instid1(VALU_DEP_3)
	v_add_f32_e32 v27, v54, v27
	v_dual_fmamk_f32 v50, v2, 0x3f68dda4, v28 :: v_dual_add_f32 v15, v29, v14
	v_mul_f32_e32 v29, 0xbe11bafb, v35
	s_delay_alu instid0(VALU_DEP_2) | instskip(SKIP_1) | instid1(VALU_DEP_3)
	v_dual_add_f32 v14, v57, v27 :: v_dual_add_f32 v27, v50, v49
	v_fmac_f32_e32 v68, 0xbf0a6770, v36
	v_fmamk_f32 v35, v34, 0x3f7d64f0, v29
	s_delay_alu instid0(VALU_DEP_1) | instskip(SKIP_2) | instid1(VALU_DEP_2)
	v_add_f32_e32 v23, v35, v27
	v_fmamk_f32 v27, v36, 0x3f4178ce, v39
	v_fmamk_f32 v35, v43, 0x3f575c64, v42
	v_dual_fmac_f32 v39, 0xbf4178ce, v36 :: v_dual_add_f32 v20, v27, v23
	s_delay_alu instid0(VALU_DEP_2) | instskip(SKIP_2) | instid1(VALU_DEP_2)
	v_add_f32_e32 v23, v0, v35
	v_fmamk_f32 v27, v48, 0x3ed4b147, v45
	v_dual_mul_f32 v35, 0xbf75a155, v52 :: v_dual_add_f32 v14, v60, v14
	v_add_f32_e32 v23, v27, v23
	v_fmamk_f32 v27, v53, 0xbe11bafb, v24
	s_delay_alu instid0(VALU_DEP_3) | instskip(SKIP_1) | instid1(VALU_DEP_3)
	v_fmamk_f32 v38, v44, 0x3e903f40, v35
	v_fmac_f32_e32 v35, 0xbe903f40, v44
	v_add_f32_e32 v23, v27, v23
	v_fmamk_f32 v27, v56, 0xbf27a4f4, v30
	s_delay_alu instid0(VALU_DEP_4) | instskip(SKIP_1) | instid1(VALU_DEP_2)
	v_dual_fmac_f32 v66, 0xbe903f40, v3 :: v_dual_add_f32 v17, v38, v20
	v_add_f32_e32 v19, v40, v19
	v_dual_add_f32 v23, v27, v23 :: v_dual_add_f32 v40, v1, v66
	s_delay_alu instid0(VALU_DEP_2) | instskip(NEXT) | instid1(VALU_DEP_1)
	v_add_f32_e32 v19, v41, v19
	v_dual_fmamk_f32 v27, v59, 0xbf75a155, v32 :: v_dual_add_f32 v20, v33, v19
	s_delay_alu instid0(VALU_DEP_1) | instskip(SKIP_2) | instid1(VALU_DEP_3)
	v_dual_fmac_f32 v69, 0x3f0a6770, v2 :: v_dual_add_f32 v16, v27, v23
	v_fma_f32 v27, 0xbf75a155, v43, -v72
	v_fmac_f32_e32 v71, 0xbf4178ce, v34
	v_add_f32_e32 v23, v69, v40
	v_dual_add_f32 v19, v22, v18 :: v_dual_add_f32 v18, v31, v20
	s_delay_alu instid0(VALU_DEP_4) | instskip(NEXT) | instid1(VALU_DEP_3)
	v_dual_add_f32 v22, v0, v27 :: v_dual_add_f32 v27, v1, v70
	v_add_f32_e32 v20, v71, v23
	v_fma_f32 v23, 0x3f575c64, v48, -v64
	s_delay_alu instid0(VALU_DEP_3) | instskip(NEXT) | instid1(VALU_DEP_3)
	v_dual_add_f32 v18, v25, v18 :: v_dual_add_f32 v25, v62, v27
	v_add_f32_e32 v20, v74, v20
	s_delay_alu instid0(VALU_DEP_3) | instskip(SKIP_4) | instid1(VALU_DEP_4)
	v_add_f32_e32 v22, v23, v22
	v_fma_f32 v23, 0xbf27a4f4, v53, -v77
	v_fma_f32 v27, 0xbf75a155, v48, -v73
	v_dual_add_f32 v25, v63, v25 :: v_dual_fmac_f32 v28, 0xbf68dda4, v2
	v_fma_f32 v2, 0x3ed4b147, v48, -v45
	v_add_f32_e32 v22, v23, v22
	v_fma_f32 v23, 0x3ed4b147, v56, -v79
	s_delay_alu instid0(VALU_DEP_4)
	v_add_f32_e32 v25, v68, v25
	v_fmac_f32_e32 v29, 0xbf7d64f0, v34
	v_fmac_f32_e32 v26, 0xbf0a6770, v3
	v_dual_add_f32 v18, v21, v18 :: v_dual_add_f32 v21, v75, v20
	v_fmac_f32_e32 v78, 0xbf4178ce, v44
	v_fma_f32 v3, 0x3f575c64, v43, -v42
	s_delay_alu instid0(VALU_DEP_4) | instskip(SKIP_4) | instid1(VALU_DEP_3)
	v_add_f32_e32 v1, v1, v26
	v_add_f32_e32 v20, v23, v22
	v_fma_f32 v23, 0xbe11bafb, v43, -v65
	v_fma_f32 v22, 0xbe11bafb, v59, -v76
	;; [unrolled: 1-line block ×3, first 2 shown]
	v_add_f32_e32 v23, v0, v23
	v_add_f32_e32 v0, v0, v3
	s_delay_alu instid0(VALU_DEP_2) | instskip(SKIP_1) | instid1(VALU_DEP_3)
	v_add_f32_e32 v3, v27, v23
	v_fma_f32 v23, 0x3ed4b147, v53, -v81
	v_dual_add_f32 v1, v28, v1 :: v_dual_add_f32 v0, v2, v0
	v_fma_f32 v2, 0xbe11bafb, v53, -v24
	s_delay_alu instid0(VALU_DEP_3) | instskip(SKIP_1) | instid1(VALU_DEP_3)
	v_dual_add_f32 v20, v22, v20 :: v_dual_add_f32 v3, v23, v3
	v_fma_f32 v23, 0x3f575c64, v56, -v82
	v_dual_add_f32 v1, v29, v1 :: v_dual_add_f32 v0, v2, v0
	v_fma_f32 v2, 0xbf27a4f4, v56, -v30
	s_delay_alu instid0(VALU_DEP_3) | instskip(SKIP_1) | instid1(VALU_DEP_4)
	v_dual_add_f32 v3, v23, v3 :: v_dual_add_nc_u32 v22, 0x400, v173
	v_fma_f32 v23, 0xbf27a4f4, v59, -v80
	v_add_f32_e32 v24, v39, v1
	s_delay_alu instid0(VALU_DEP_4) | instskip(SKIP_1) | instid1(VALU_DEP_4)
	v_add_f32_e32 v2, v2, v0
	v_add_f32_e32 v1, v78, v25
	v_dual_add_f32 v0, v23, v3 :: v_dual_add_nc_u32 v25, 0x1400, v173
	v_add_nc_u32_e32 v23, 0x800, v173
	s_delay_alu instid0(VALU_DEP_4)
	v_dual_add_f32 v3, v35, v24 :: v_dual_add_f32 v2, v26, v2
	v_add_nc_u32_e32 v24, 0x1000, v173
	ds_store_2addr_b64 v173, v[18:19], v[16:17] offset0:44 offset1:128
	ds_store_2addr_b64 v22, v[14:15], v[12:13] offset0:84 offset1:168
	;; [unrolled: 1-line block ×5, first 2 shown]
	ds_store_b64 v173, v[2:3] offset:7072
.LBB0_29:
	s_wait_alu 0xfffe
	s_or_b32 exec_lo, exec_lo, s1
	global_wb scope:SCOPE_SE
	s_wait_dscnt 0x0
	s_barrier_signal -1
	s_barrier_wait -1
	global_inv scope:SCOPE_SE
	ds_load_2addr_b64 v[0:3], v173 offset1:44
	v_add_nc_u32_e32 v47, 0x800, v173
	v_add_nc_u32_e32 v48, 0x1000, v173
	v_mad_co_u64_u32 v[30:31], null, s6, v138, 0
	v_mad_co_u64_u32 v[32:33], null, s4, v174, 0
	s_mov_b32 s2, 0x4046ed29
	s_mov_b32 s3, 0x3f51bb4a
	s_mul_u64 s[0:1], s[4:5], 0x1ce
	s_movk_i32 s10, 0xfe5e
	s_mov_b32 s11, -1
	s_delay_alu instid0(VALU_DEP_1)
	v_mad_co_u64_u32 v[34:35], null, s7, v138, v[31:32]
	s_wait_alu 0xfffe
	s_lshl_b64 s[6:7], s[0:1], 3
	s_wait_dscnt 0x0
	v_dual_mul_f32 v17, v164, v0 :: v_dual_mul_f32 v18, v162, v3
	ds_load_2addr_b64 v[4:7], v173 offset0:88 offset1:132
	ds_load_2addr_b64 v[8:11], v47 offset0:206 offset1:250
	v_dual_mul_f32 v16, v164, v1 :: v_dual_mul_f32 v19, v162, v2
	ds_load_2addr_b64 v[12:15], v48 offset0:38 offset1:82
	v_fmac_f32_e32 v18, v161, v2
	v_fmac_f32_e32 v16, v163, v0
	v_fma_f32 v0, v163, v1, -v17
	v_fma_f32 v2, v161, v3, -v19
	s_wait_dscnt 0x2
	v_mul_f32_e32 v21, v166, v4
	s_wait_dscnt 0x1
	v_mul_f32_e32 v1, v156, v9
	v_mul_f32_e32 v20, v166, v5
	v_dual_mul_f32 v22, v156, v8 :: v_dual_mul_f32 v3, v158, v11
	v_fma_f32 v21, v165, v5, -v21
	s_delay_alu instid0(VALU_DEP_4) | instskip(NEXT) | instid1(VALU_DEP_4)
	v_fmac_f32_e32 v1, v155, v8
	v_dual_mul_f32 v23, v158, v10 :: v_dual_fmac_f32 v20, v165, v4
	v_cvt_f64_f32_e32 v[4:5], v16
	v_cvt_f64_f32_e32 v[16:17], v0
	v_fma_f32 v0, v155, v9, -v22
	v_cvt_f64_f32_e32 v[8:9], v18
	v_cvt_f64_f32_e32 v[18:19], v2
	v_fma_f32 v2, v157, v11, -v23
	v_cvt_f64_f32_e32 v[22:23], v1
	v_dual_fmac_f32 v3, v157, v10 :: v_dual_mul_f32 v36, v152, v7
	s_wait_dscnt 0x0
	v_mul_f32_e32 v31, v154, v13
	v_cvt_f64_f32_e32 v[24:25], v0
	v_cvt_f64_f32_e32 v[28:29], v2
	;; [unrolled: 1-line block ×3, first 2 shown]
	v_fmac_f32_e32 v36, v151, v6
	ds_load_2addr_b64 v[0:3], v173 offset0:176 offset1:220
	v_mul_f32_e32 v37, v152, v6
	v_fmac_f32_e32 v31, v153, v12
	v_cvt_f64_f32_e32 v[10:11], v20
	v_cvt_f64_f32_e32 v[20:21], v21
	v_mul_f32_e32 v40, v150, v14
	v_fma_f32 v37, v151, v7, -v37
	v_cvt_f64_f32_e32 v[6:7], v31
	v_mul_f32_e32 v31, v150, v15
	s_delay_alu instid0(VALU_DEP_4) | instskip(NEXT) | instid1(VALU_DEP_4)
	v_fma_f32 v40, v149, v15, -v40
	v_cvt_f64_f32_e32 v[37:38], v37
	s_delay_alu instid0(VALU_DEP_3) | instskip(NEXT) | instid1(VALU_DEP_1)
	v_fmac_f32_e32 v31, v149, v14
	v_cvt_f64_f32_e32 v[14:15], v31
	v_mov_b32_e32 v31, v34
	s_wait_dscnt 0x0
	v_mul_f32_e32 v41, v160, v1
	v_mul_f32_e32 v39, v160, v0
	v_mul_f64_e32 v[4:5], s[2:3], v[4:5]
	v_mul_f64_e32 v[16:17], s[2:3], v[16:17]
	s_delay_alu instid0(VALU_DEP_4) | instskip(NEXT) | instid1(VALU_DEP_4)
	v_fmac_f32_e32 v41, v159, v0
	v_fma_f32 v43, v159, v1, -v39
	v_mad_co_u64_u32 v[0:1], null, s5, v174, v[33:34]
	v_mul_f64_e32 v[22:23], s[2:3], v[22:23]
	v_mul_f64_e32 v[8:9], s[2:3], v[8:9]
	;; [unrolled: 1-line block ×3, first 2 shown]
	v_cvt_f64_f32_e32 v[39:40], v40
	v_mul_f64_e32 v[24:25], s[2:3], v[24:25]
	v_mul_f64_e32 v[28:29], s[2:3], v[28:29]
	v_mov_b32_e32 v33, v0
	v_lshlrev_b64_e32 v[0:1], 3, v[30:31]
	v_mul_f64_e32 v[26:27], s[2:3], v[26:27]
	s_mul_u64 s[4:5], s[4:5], s[10:11]
	v_cvt_f64_f32_e32 v[43:44], v43
	v_lshlrev_b64_e32 v[30:31], 3, v[32:33]
	v_mul_f64_e32 v[10:11], s[2:3], v[10:11]
	v_mul_f64_e32 v[20:21], s[2:3], v[20:21]
	s_wait_alu 0xfffe
	s_lshl_b64 s[4:5], s[4:5], 3
	v_mul_f64_e32 v[32:33], s[2:3], v[6:7]
	v_mul_f64_e32 v[14:15], s[2:3], v[14:15]
	v_cvt_f32_f64_e32 v45, v[4:5]
	v_add_co_u32 v4, s0, s8, v0
	s_wait_alu 0xf1ff
	v_add_co_ci_u32_e64 v5, s0, s9, v1, s0
	v_cvt_f32_f64_e32 v46, v[16:17]
	v_cvt_f32_f64_e32 v16, v[22:23]
	v_add_co_u32 v22, s0, v4, v30
	s_wait_alu 0xf1ff
	v_add_co_ci_u32_e64 v23, s0, v5, v31, s0
	ds_load_2addr_b64 v[4:7], v48 offset0:126 offset1:170
	v_mul_f32_e32 v35, v154, v12
	v_cvt_f32_f64_e32 v17, v[24:25]
	v_cvt_f32_f64_e32 v8, v[8:9]
	;; [unrolled: 1-line block ×4, first 2 shown]
	v_fma_f32 v12, v153, v13, -v35
	v_cvt_f64_f32_e32 v[35:36], v36
	v_cvt_f32_f64_e32 v19, v[28:29]
	v_cvt_f32_f64_e32 v10, v[10:11]
	;; [unrolled: 1-line block ×3, first 2 shown]
	v_cvt_f64_f32_e32 v[12:13], v12
	v_mul_f64_e32 v[20:21], s[2:3], v[37:38]
	v_add_co_u32 v30, s0, v22, s6
	s_wait_alu 0xf1ff
	v_add_co_ci_u32_e64 v31, s0, s7, v23, s0
	v_mul_f64_e32 v[24:25], s[2:3], v[39:40]
	s_wait_alu 0xfffe
	v_add_co_u32 v34, s0, v30, s4
	v_cvt_f32_f64_e32 v32, v[32:33]
	v_mul_f64_e32 v[28:29], s[2:3], v[43:44]
	v_mul_f64_e32 v[0:1], s[2:3], v[35:36]
	s_wait_alu 0xf1ff
	v_add_co_ci_u32_e64 v35, s0, s5, v31, s0
	v_add_co_u32 v36, s0, v34, s6
	v_mul_f64_e32 v[12:13], s[2:3], v[12:13]
	s_wait_alu 0xf1ff
	s_delay_alu instid0(VALU_DEP_3) | instskip(NEXT) | instid1(VALU_DEP_3)
	v_add_co_ci_u32_e64 v37, s0, s7, v35, s0
	v_add_co_u32 v38, s0, v36, s4
	s_wait_alu 0xf1ff
	s_delay_alu instid0(VALU_DEP_2)
	v_add_co_ci_u32_e64 v39, s0, s5, v37, s0
	s_clause 0x4
	global_store_b64 v[22:23], v[45:46], off
	global_store_b64 v[30:31], v[16:17], off
	;; [unrolled: 1-line block ×5, first 2 shown]
	ds_load_2addr_b64 v[8:11], v47 offset0:8 offset1:52
	v_cvt_f32_f64_e32 v19, v[20:21]
	v_cvt_f32_f64_e32 v20, v[14:15]
	;; [unrolled: 1-line block ×4, first 2 shown]
	v_add_co_u32 v16, s0, v38, s6
	s_wait_alu 0xf1ff
	v_add_co_ci_u32_e64 v17, s0, s7, v39, s0
	s_delay_alu instid0(VALU_DEP_2) | instskip(SKIP_1) | instid1(VALU_DEP_2)
	v_add_co_u32 v54, s0, v16, s4
	s_wait_alu 0xf1ff
	v_add_co_ci_u32_e64 v55, s0, s5, v17, s0
	s_delay_alu instid0(VALU_DEP_2) | instskip(SKIP_1) | instid1(VALU_DEP_2)
	;; [unrolled: 4-line block ×3, first 2 shown]
	v_add_co_u32 v58, s0, v56, s4
	s_wait_alu 0xf1ff
	v_add_co_ci_u32_e64 v59, s0, s5, v57, s0
	v_cvt_f32_f64_e32 v18, v[0:1]
	s_wait_dscnt 0x1
	v_mul_f32_e32 v0, v137, v5
	v_mul_f32_e32 v1, v137, v4
	v_cvt_f32_f64_e32 v33, v[12:13]
	s_delay_alu instid0(VALU_DEP_3) | instskip(SKIP_1) | instid1(VALU_DEP_2)
	v_fmac_f32_e32 v0, v136, v4
	v_add_nc_u32_e32 v4, 0x1400, v173
	v_cvt_f64_f32_e32 v[24:25], v0
	ds_load_2addr_b64 v[12:15], v4 offset0:86 offset1:130
	v_mul_f32_e32 v0, v144, v2
	s_wait_dscnt 0x1
	v_mul_f32_e32 v4, v127, v9
	s_delay_alu instid0(VALU_DEP_2) | instskip(NEXT) | instid1(VALU_DEP_2)
	v_fma_f32 v0, v143, v3, -v0
	v_fmac_f32_e32 v4, v126, v8
	v_mul_f32_e32 v8, v127, v8
	s_delay_alu instid0(VALU_DEP_3) | instskip(NEXT) | instid1(VALU_DEP_3)
	v_cvt_f64_f32_e32 v[30:31], v0
	v_cvt_f64_f32_e32 v[38:39], v4
	s_delay_alu instid0(VALU_DEP_3) | instskip(NEXT) | instid1(VALU_DEP_1)
	v_fma_f32 v8, v126, v9, -v8
	v_cvt_f64_f32_e32 v[8:9], v8
	s_wait_dscnt 0x0
	v_mul_f32_e32 v40, v140, v13
	v_cvt_f64_f32_e32 v[41:42], v41
	v_mul_f32_e32 v44, v135, v15
	s_delay_alu instid0(VALU_DEP_3) | instskip(NEXT) | instid1(VALU_DEP_2)
	v_fmac_f32_e32 v40, v139, v12
	v_fmac_f32_e32 v44, v134, v14
	v_mul_f64_e32 v[24:25], s[2:3], v[24:25]
	v_mul_f64_e32 v[30:31], s[2:3], v[30:31]
	;; [unrolled: 1-line block ×5, first 2 shown]
	v_mul_f32_e32 v42, v131, v11
	v_fma_f32 v1, v136, v5, -v1
	v_mul_f32_e32 v5, v144, v3
	s_delay_alu instid0(VALU_DEP_3) | instskip(NEXT) | instid1(VALU_DEP_2)
	v_dual_mul_f32 v41, v140, v12 :: v_dual_fmac_f32 v42, v130, v10
	v_fmac_f32_e32 v5, v143, v2
	v_mul_f32_e32 v2, v142, v6
	s_delay_alu instid0(VALU_DEP_3) | instskip(NEXT) | instid1(VALU_DEP_2)
	v_fma_f32 v12, v139, v13, -v41
	v_fma_f32 v2, v141, v7, -v2
	s_delay_alu instid0(VALU_DEP_2) | instskip(SKIP_1) | instid1(VALU_DEP_3)
	v_cvt_f64_f32_e32 v[12:13], v12
	v_cvt_f32_f64_e32 v24, v[24:25]
	v_cvt_f64_f32_e32 v[36:37], v2
	v_cvt_f32_f64_e32 v38, v[38:39]
	v_cvt_f32_f64_e32 v39, v[8:9]
	;; [unrolled: 1-line block ×3, first 2 shown]
	v_cvt_f64_f32_e32 v[26:27], v1
	v_mul_f32_e32 v1, v142, v7
	s_delay_alu instid0(VALU_DEP_1) | instskip(NEXT) | instid1(VALU_DEP_1)
	v_fmac_f32_e32 v1, v141, v6
	v_cvt_f64_f32_e32 v[34:35], v1
	ds_load_2addr_b64 v[0:3], v47 offset0:96 offset1:140
	v_mul_f64_e32 v[12:13], s[2:3], v[12:13]
	v_mul_f64_e32 v[36:37], s[2:3], v[36:37]
	s_wait_dscnt 0x0
	v_mul_f32_e32 v46, v133, v1
	v_cvt_f64_f32_e32 v[28:29], v5
	v_add_nc_u32_e32 v5, 0x1800, v173
	v_mul_f32_e32 v43, v131, v10
	v_dual_mul_f32 v47, v133, v0 :: v_dual_mul_f32 v50, v146, v3
	v_fmac_f32_e32 v46, v132, v0
	ds_load_2addr_b64 v[4:7], v5 offset0:46 offset1:90
	v_fma_f32 v43, v130, v11, -v43
	v_cvt_f64_f32_e32 v[10:11], v40
	v_mul_f32_e32 v51, v146, v2
	v_fma_f32 v47, v132, v1, -v47
	v_fmac_f32_e32 v50, v145, v2
	v_cvt_f64_f32_e32 v[40:41], v42
	v_cvt_f64_f32_e32 v[42:43], v43
	v_fma_f32 v51, v145, v3, -v51
	v_cvt_f64_f32_e32 v[0:1], v44
	v_mul_f64_e32 v[26:27], s[2:3], v[26:27]
	v_mul_f64_e32 v[34:35], s[2:3], v[34:35]
	global_store_b64 v[16:17], v[32:33], off
	global_store_b64 v[54:55], v[18:19], off
	;; [unrolled: 1-line block ×4, first 2 shown]
	v_cvt_f32_f64_e32 v9, v[12:13]
	s_wait_dscnt 0x0
	v_dual_mul_f32 v48, v129, v5 :: v_dual_mul_f32 v45, v135, v14
	v_mul_f32_e32 v52, v148, v7
	v_mul_f32_e32 v53, v148, v6
	s_delay_alu instid0(VALU_DEP_3)
	v_fmac_f32_e32 v48, v128, v4
	v_mul_f32_e32 v4, v129, v4
	v_fma_f32 v14, v134, v15, -v45
	v_fmac_f32_e32 v52, v147, v6
	v_fma_f32 v53, v147, v7, -v53
	v_cvt_f64_f32_e32 v[44:45], v46
	v_fma_f32 v4, v128, v5, -v4
	v_cvt_f64_f32_e32 v[14:15], v14
	v_cvt_f64_f32_e32 v[46:47], v47
	;; [unrolled: 1-line block ×8, first 2 shown]
	v_mul_f64_e32 v[28:29], s[2:3], v[28:29]
	v_mul_f64_e32 v[10:11], s[2:3], v[10:11]
	;; [unrolled: 1-line block ×5, first 2 shown]
	v_cvt_f32_f64_e32 v25, v[26:27]
	v_add_co_u32 v26, s0, v58, s6
	s_wait_alu 0xf1ff
	v_add_co_ci_u32_e64 v27, s0, s7, v59, s0
	v_cvt_f32_f64_e32 v34, v[34:35]
	v_cvt_f32_f64_e32 v35, v[36:37]
	v_mul_f64_e32 v[20:21], s[2:3], v[44:45]
	v_mul_f64_e32 v[14:15], s[2:3], v[14:15]
	;; [unrolled: 1-line block ×9, first 2 shown]
	v_cvt_f32_f64_e32 v28, v[28:29]
	v_cvt_f32_f64_e32 v29, v[30:31]
	v_add_co_u32 v30, s0, v26, s4
	s_wait_alu 0xf1ff
	v_add_co_ci_u32_e64 v31, s0, s5, v27, s0
	v_cvt_f32_f64_e32 v8, v[10:11]
	s_delay_alu instid0(VALU_DEP_3) | instskip(SKIP_1) | instid1(VALU_DEP_3)
	v_add_co_u32 v36, s0, v30, s6
	s_wait_alu 0xf1ff
	v_add_co_ci_u32_e64 v37, s0, s7, v31, s0
	v_cvt_f32_f64_e32 v12, v[16:17]
	s_delay_alu instid0(VALU_DEP_3) | instskip(SKIP_1) | instid1(VALU_DEP_3)
	v_add_co_u32 v10, s0, v36, s4
	s_wait_alu 0xf1ff
	v_add_co_ci_u32_e64 v11, s0, s5, v37, s0
	v_cvt_f32_f64_e32 v13, v[18:19]
	v_cvt_f32_f64_e32 v16, v[0:1]
	v_add_co_u32 v0, s0, v10, s6
	s_wait_alu 0xf1ff
	v_add_co_ci_u32_e64 v1, s0, s7, v11, s0
	global_store_b64 v[26:27], v[24:25], off
	v_cvt_f32_f64_e32 v17, v[14:15]
	v_cvt_f32_f64_e32 v14, v[20:21]
	;; [unrolled: 1-line block ×9, first 2 shown]
	v_add_co_u32 v6, s0, v0, s4
	s_wait_alu 0xf1ff
	v_add_co_ci_u32_e64 v7, s0, s5, v1, s0
	global_store_b64 v[30:31], v[28:29], off
	v_add_co_u32 v20, s0, v6, s6
	s_wait_alu 0xf1ff
	v_add_co_ci_u32_e64 v21, s0, s7, v7, s0
	global_store_b64 v[36:37], v[34:35], off
	;; [unrolled: 4-line block ×6, first 2 shown]
	global_store_b64 v[22:23], v[14:15], off
	global_store_b64 v[10:11], v[18:19], off
	;; [unrolled: 1-line block ×4, first 2 shown]
	s_and_b32 exec_lo, exec_lo, vcc_lo
	s_cbranch_execz .LBB0_31
; %bb.30:
	global_load_b64 v[2:3], v[124:125], off offset:3520
	ds_load_b64 v[4:5], v173 offset:3520
	ds_load_b64 v[6:7], v173 offset:7216
	v_add_co_u32 v0, vcc_lo, v0, s4
	s_wait_alu 0xfffd
	v_add_co_ci_u32_e32 v1, vcc_lo, s5, v1, vcc_lo
	s_wait_loadcnt_dscnt 0x1
	v_mul_f32_e32 v8, v5, v3
	v_mul_f32_e32 v3, v4, v3
	s_delay_alu instid0(VALU_DEP_2) | instskip(NEXT) | instid1(VALU_DEP_2)
	v_fmac_f32_e32 v8, v4, v2
	v_fma_f32 v4, v2, v5, -v3
	s_delay_alu instid0(VALU_DEP_2) | instskip(NEXT) | instid1(VALU_DEP_2)
	v_cvt_f64_f32_e32 v[2:3], v8
	v_cvt_f64_f32_e32 v[4:5], v4
	s_delay_alu instid0(VALU_DEP_2) | instskip(NEXT) | instid1(VALU_DEP_2)
	v_mul_f64_e32 v[2:3], s[2:3], v[2:3]
	v_mul_f64_e32 v[4:5], s[2:3], v[4:5]
	s_delay_alu instid0(VALU_DEP_2) | instskip(NEXT) | instid1(VALU_DEP_2)
	v_cvt_f32_f64_e32 v2, v[2:3]
	v_cvt_f32_f64_e32 v3, v[4:5]
	global_store_b64 v[0:1], v[2:3], off
	global_load_b64 v[2:3], v[124:125], off offset:7216
	v_add_co_u32 v0, vcc_lo, v0, s6
	s_wait_alu 0xfffd
	v_add_co_ci_u32_e32 v1, vcc_lo, s7, v1, vcc_lo
	s_wait_loadcnt_dscnt 0x0
	v_mul_f32_e32 v4, v7, v3
	v_mul_f32_e32 v3, v6, v3
	s_delay_alu instid0(VALU_DEP_2) | instskip(NEXT) | instid1(VALU_DEP_2)
	v_fmac_f32_e32 v4, v6, v2
	v_fma_f32 v5, v2, v7, -v3
	s_delay_alu instid0(VALU_DEP_2) | instskip(NEXT) | instid1(VALU_DEP_2)
	v_cvt_f64_f32_e32 v[2:3], v4
	v_cvt_f64_f32_e32 v[4:5], v5
	s_delay_alu instid0(VALU_DEP_2) | instskip(NEXT) | instid1(VALU_DEP_2)
	v_mul_f64_e32 v[2:3], s[2:3], v[2:3]
	v_mul_f64_e32 v[4:5], s[2:3], v[4:5]
	s_delay_alu instid0(VALU_DEP_2) | instskip(NEXT) | instid1(VALU_DEP_2)
	v_cvt_f32_f64_e32 v2, v[2:3]
	v_cvt_f32_f64_e32 v3, v[4:5]
	global_store_b64 v[0:1], v[2:3], off
.LBB0_31:
	s_nop 0
	s_sendmsg sendmsg(MSG_DEALLOC_VGPRS)
	s_endpgm
	.section	.rodata,"a",@progbits
	.p2align	6, 0x0
	.amdhsa_kernel bluestein_single_back_len924_dim1_sp_op_CI_CI
		.amdhsa_group_segment_fixed_size 7392
		.amdhsa_private_segment_fixed_size 0
		.amdhsa_kernarg_size 104
		.amdhsa_user_sgpr_count 2
		.amdhsa_user_sgpr_dispatch_ptr 0
		.amdhsa_user_sgpr_queue_ptr 0
		.amdhsa_user_sgpr_kernarg_segment_ptr 1
		.amdhsa_user_sgpr_dispatch_id 0
		.amdhsa_user_sgpr_private_segment_size 0
		.amdhsa_wavefront_size32 1
		.amdhsa_uses_dynamic_stack 0
		.amdhsa_enable_private_segment 0
		.amdhsa_system_sgpr_workgroup_id_x 1
		.amdhsa_system_sgpr_workgroup_id_y 0
		.amdhsa_system_sgpr_workgroup_id_z 0
		.amdhsa_system_sgpr_workgroup_info 0
		.amdhsa_system_vgpr_workitem_id 0
		.amdhsa_next_free_vgpr 249
		.amdhsa_next_free_sgpr 18
		.amdhsa_reserve_vcc 1
		.amdhsa_float_round_mode_32 0
		.amdhsa_float_round_mode_16_64 0
		.amdhsa_float_denorm_mode_32 3
		.amdhsa_float_denorm_mode_16_64 3
		.amdhsa_fp16_overflow 0
		.amdhsa_workgroup_processor_mode 1
		.amdhsa_memory_ordered 1
		.amdhsa_forward_progress 0
		.amdhsa_round_robin_scheduling 0
		.amdhsa_exception_fp_ieee_invalid_op 0
		.amdhsa_exception_fp_denorm_src 0
		.amdhsa_exception_fp_ieee_div_zero 0
		.amdhsa_exception_fp_ieee_overflow 0
		.amdhsa_exception_fp_ieee_underflow 0
		.amdhsa_exception_fp_ieee_inexact 0
		.amdhsa_exception_int_div_zero 0
	.end_amdhsa_kernel
	.text
.Lfunc_end0:
	.size	bluestein_single_back_len924_dim1_sp_op_CI_CI, .Lfunc_end0-bluestein_single_back_len924_dim1_sp_op_CI_CI
                                        ; -- End function
	.section	.AMDGPU.csdata,"",@progbits
; Kernel info:
; codeLenInByte = 25788
; NumSgprs: 20
; NumVgprs: 249
; ScratchSize: 0
; MemoryBound: 0
; FloatMode: 240
; IeeeMode: 1
; LDSByteSize: 7392 bytes/workgroup (compile time only)
; SGPRBlocks: 2
; VGPRBlocks: 31
; NumSGPRsForWavesPerEU: 20
; NumVGPRsForWavesPerEU: 249
; Occupancy: 5
; WaveLimiterHint : 1
; COMPUTE_PGM_RSRC2:SCRATCH_EN: 0
; COMPUTE_PGM_RSRC2:USER_SGPR: 2
; COMPUTE_PGM_RSRC2:TRAP_HANDLER: 0
; COMPUTE_PGM_RSRC2:TGID_X_EN: 1
; COMPUTE_PGM_RSRC2:TGID_Y_EN: 0
; COMPUTE_PGM_RSRC2:TGID_Z_EN: 0
; COMPUTE_PGM_RSRC2:TIDIG_COMP_CNT: 0
	.text
	.p2alignl 7, 3214868480
	.fill 96, 4, 3214868480
	.type	__hip_cuid_5ef6ca7d8fc7429c,@object ; @__hip_cuid_5ef6ca7d8fc7429c
	.section	.bss,"aw",@nobits
	.globl	__hip_cuid_5ef6ca7d8fc7429c
__hip_cuid_5ef6ca7d8fc7429c:
	.byte	0                               ; 0x0
	.size	__hip_cuid_5ef6ca7d8fc7429c, 1

	.ident	"AMD clang version 19.0.0git (https://github.com/RadeonOpenCompute/llvm-project roc-6.4.0 25133 c7fe45cf4b819c5991fe208aaa96edf142730f1d)"
	.section	".note.GNU-stack","",@progbits
	.addrsig
	.addrsig_sym __hip_cuid_5ef6ca7d8fc7429c
	.amdgpu_metadata
---
amdhsa.kernels:
  - .args:
      - .actual_access:  read_only
        .address_space:  global
        .offset:         0
        .size:           8
        .value_kind:     global_buffer
      - .actual_access:  read_only
        .address_space:  global
        .offset:         8
        .size:           8
        .value_kind:     global_buffer
      - .actual_access:  read_only
        .address_space:  global
        .offset:         16
        .size:           8
        .value_kind:     global_buffer
      - .actual_access:  read_only
        .address_space:  global
        .offset:         24
        .size:           8
        .value_kind:     global_buffer
      - .actual_access:  read_only
        .address_space:  global
        .offset:         32
        .size:           8
        .value_kind:     global_buffer
      - .offset:         40
        .size:           8
        .value_kind:     by_value
      - .address_space:  global
        .offset:         48
        .size:           8
        .value_kind:     global_buffer
      - .address_space:  global
        .offset:         56
        .size:           8
        .value_kind:     global_buffer
      - .address_space:  global
        .offset:         64
        .size:           8
        .value_kind:     global_buffer
      - .address_space:  global
        .offset:         72
        .size:           8
        .value_kind:     global_buffer
      - .offset:         80
        .size:           4
        .value_kind:     by_value
      - .address_space:  global
        .offset:         88
        .size:           8
        .value_kind:     global_buffer
      - .address_space:  global
        .offset:         96
        .size:           8
        .value_kind:     global_buffer
    .group_segment_fixed_size: 7392
    .kernarg_segment_align: 8
    .kernarg_segment_size: 104
    .language:       OpenCL C
    .language_version:
      - 2
      - 0
    .max_flat_workgroup_size: 44
    .name:           bluestein_single_back_len924_dim1_sp_op_CI_CI
    .private_segment_fixed_size: 0
    .sgpr_count:     20
    .sgpr_spill_count: 0
    .symbol:         bluestein_single_back_len924_dim1_sp_op_CI_CI.kd
    .uniform_work_group_size: 1
    .uses_dynamic_stack: false
    .vgpr_count:     249
    .vgpr_spill_count: 0
    .wavefront_size: 32
    .workgroup_processor_mode: 1
amdhsa.target:   amdgcn-amd-amdhsa--gfx1201
amdhsa.version:
  - 1
  - 2
...

	.end_amdgpu_metadata
